;; amdgpu-corpus repo=ROCm/rocFFT kind=compiled arch=gfx1030 opt=O3
	.text
	.amdgcn_target "amdgcn-amd-amdhsa--gfx1030"
	.amdhsa_code_object_version 6
	.protected	bluestein_single_back_len143_dim1_half_op_CI_CI ; -- Begin function bluestein_single_back_len143_dim1_half_op_CI_CI
	.globl	bluestein_single_back_len143_dim1_half_op_CI_CI
	.p2align	8
	.type	bluestein_single_back_len143_dim1_half_op_CI_CI,@function
bluestein_single_back_len143_dim1_half_op_CI_CI: ; @bluestein_single_back_len143_dim1_half_op_CI_CI
; %bb.0:
	s_load_dwordx4 s[0:3], s[4:5], 0x28
	v_mul_u32_u24_e32 v1, 0x13b2, v0
	v_lshrrev_b32_e32 v1, 16, v1
	v_mad_u64_u32 v[8:9], null, s6, 14, v[1:2]
	v_mov_b32_e32 v9, 0
	s_waitcnt lgkmcnt(0)
	v_cmp_gt_u64_e32 vcc_lo, s[0:1], v[8:9]
	s_and_saveexec_b32 s0, vcc_lo
	s_cbranch_execz .LBB0_15
; %bb.1:
	v_lshrrev_b32_e32 v2, 1, v8
	v_mul_lo_u16 v1, v1, 13
	s_clause 0x1
	s_load_dwordx2 s[20:21], s[4:5], 0x0
	s_load_dwordx2 s[6:7], s[4:5], 0x38
	v_mul_hi_u32 v2, 0x92492493, v2
	v_sub_nc_u16 v0, v0, v1
	v_and_b32_e32 v24, 0xffff, v0
	v_cmp_gt_u16_e32 vcc_lo, 11, v0
	v_lshrrev_b32_e32 v2, 2, v2
	v_lshlrev_b32_e32 v23, 2, v24
	v_mul_lo_u32 v2, v2, 14
	v_sub_nc_u32_e32 v1, v8, v2
	v_mul_u32_u24_e32 v9, 0x8f, v1
	v_lshlrev_b32_e32 v26, 2, v9
	s_and_saveexec_b32 s1, vcc_lo
	s_cbranch_execz .LBB0_3
; %bb.2:
	s_load_dwordx2 s[8:9], s[4:5], 0x18
	v_lshl_add_u32 v33, v24, 2, v26
	v_add_nc_u32_e32 v36, v26, v23
	s_waitcnt lgkmcnt(0)
	s_load_dwordx4 s[8:11], s[8:9], 0x0
	s_waitcnt lgkmcnt(0)
	v_mad_u64_u32 v[0:1], null, s10, v8, 0
	v_mad_u64_u32 v[2:3], null, s8, v24, 0
	s_mul_hi_u32 s10, s8, 44
	v_mad_u64_u32 v[4:5], null, s11, v8, v[1:2]
	v_mad_u64_u32 v[5:6], null, s9, v24, v[3:4]
	v_mov_b32_e32 v1, v4
	s_mul_i32 s9, s9, 44
	s_clause 0x1
	global_load_dword v6, v23, s[20:21]
	global_load_dword v7, v23, s[20:21] offset:44
	s_add_i32 s10, s10, s9
	v_lshlrev_b64 v[0:1], 2, v[0:1]
	v_mov_b32_e32 v3, v5
	v_add_co_u32 v0, s0, s2, v0
	v_lshlrev_b64 v[2:3], 2, v[2:3]
	v_add_co_ci_u32_e64 v1, s0, s3, v1, s0
	s_mul_i32 s2, s8, 44
	v_add_co_u32 v0, s0, v0, v2
	v_add_co_ci_u32_e64 v1, s0, v1, v3, s0
	v_add_co_u32 v2, s0, v0, s2
	v_add_co_ci_u32_e64 v3, s0, s10, v1, s0
	s_clause 0x1
	global_load_dword v10, v[0:1], off
	global_load_dword v11, v[2:3], off
	v_add_co_u32 v0, s0, v2, s2
	v_add_co_ci_u32_e64 v1, s0, s10, v3, s0
	v_add_co_u32 v2, s0, v0, s2
	v_add_co_ci_u32_e64 v3, s0, s10, v1, s0
	global_load_dword v12, v[0:1], off
	v_add_co_u32 v0, s0, v2, s2
	v_add_co_ci_u32_e64 v1, s0, s10, v3, s0
	s_clause 0x1
	global_load_dword v13, v23, s[20:21] offset:88
	global_load_dword v14, v23, s[20:21] offset:132
	s_clause 0x1
	global_load_dword v15, v[2:3], off
	global_load_dword v16, v[0:1], off
	v_add_co_u32 v0, s0, v0, s2
	v_add_co_ci_u32_e64 v1, s0, s10, v1, s0
	s_clause 0x3
	global_load_dword v17, v23, s[20:21] offset:176
	global_load_dword v18, v23, s[20:21] offset:220
	;; [unrolled: 1-line block ×4, first 2 shown]
	global_load_dword v21, v[0:1], off
	v_add_co_u32 v0, s0, v0, s2
	v_add_co_ci_u32_e64 v1, s0, s10, v1, s0
	s_clause 0x1
	global_load_dword v22, v23, s[20:21] offset:352
	global_load_dword v25, v23, s[20:21] offset:396
	v_add_co_u32 v2, s0, v0, s2
	v_add_co_ci_u32_e64 v3, s0, s10, v1, s0
	global_load_dword v27, v[0:1], off
	v_add_co_u32 v0, s0, v2, s2
	v_add_co_ci_u32_e64 v1, s0, s10, v3, s0
	global_load_dword v28, v[2:3], off
	;; [unrolled: 3-line block ×4, first 2 shown]
	v_add_co_u32 v2, s0, v0, s2
	v_add_co_ci_u32_e64 v3, s0, s10, v1, s0
	v_add_co_u32 v4, s0, v2, s2
	v_add_co_ci_u32_e64 v5, s0, s10, v3, s0
	global_load_dword v0, v[0:1], off
	global_load_dword v1, v23, s[20:21] offset:440
	global_load_dword v2, v[2:3], off
	global_load_dword v3, v[4:5], off
	s_clause 0x1
	global_load_dword v4, v23, s[20:21] offset:484
	global_load_dword v5, v23, s[20:21] offset:528
	s_waitcnt vmcnt(23)
	v_lshrrev_b32_e32 v31, 16, v10
	v_mul_f16_sdwa v32, v6, v10 dst_sel:DWORD dst_unused:UNUSED_PAD src0_sel:WORD_1 src1_sel:DWORD
	s_waitcnt vmcnt(22)
	v_lshrrev_b32_e32 v35, 16, v11
	v_mul_f16_sdwa v34, v6, v31 dst_sel:DWORD dst_unused:UNUSED_PAD src0_sel:WORD_1 src1_sel:DWORD
	v_fma_f16 v31, v6, v31, -v32
	v_mul_f16_sdwa v32, v7, v11 dst_sel:DWORD dst_unused:UNUSED_PAD src0_sel:WORD_1 src1_sel:DWORD
	v_fmac_f16_e32 v34, v6, v10
	v_mul_f16_sdwa v6, v7, v35 dst_sel:DWORD dst_unused:UNUSED_PAD src0_sel:WORD_1 src1_sel:DWORD
	v_fma_f16 v32, v7, v35, -v32
	s_waitcnt vmcnt(21)
	v_lshrrev_b32_e32 v10, 16, v12
	s_waitcnt vmcnt(20)
	v_mul_f16_sdwa v37, v13, v12 dst_sel:DWORD dst_unused:UNUSED_PAD src0_sel:WORD_1 src1_sel:DWORD
	v_fmac_f16_e32 v6, v7, v11
	s_waitcnt vmcnt(18)
	v_lshrrev_b32_e32 v11, 16, v15
	v_mul_f16_sdwa v7, v13, v10 dst_sel:DWORD dst_unused:UNUSED_PAD src0_sel:WORD_1 src1_sel:DWORD
	v_pack_b32_f16 v31, v34, v31
	v_fma_f16 v10, v13, v10, -v37
	v_mul_f16_sdwa v34, v14, v15 dst_sel:DWORD dst_unused:UNUSED_PAD src0_sel:WORD_1 src1_sel:DWORD
	v_pack_b32_f16 v6, v6, v32
	v_fmac_f16_e32 v7, v13, v12
	v_mul_f16_sdwa v12, v14, v11 dst_sel:DWORD dst_unused:UNUSED_PAD src0_sel:WORD_1 src1_sel:DWORD
	s_waitcnt vmcnt(17)
	v_lshrrev_b32_e32 v13, 16, v16
	ds_write_b32 v33, v31
	s_waitcnt vmcnt(16)
	v_mul_f16_sdwa v31, v17, v16 dst_sel:DWORD dst_unused:UNUSED_PAD src0_sel:WORD_1 src1_sel:DWORD
	v_fma_f16 v11, v14, v11, -v34
	v_pack_b32_f16 v7, v7, v10
	v_fmac_f16_e32 v12, v14, v15
	v_mul_f16_sdwa v10, v17, v13 dst_sel:DWORD dst_unused:UNUSED_PAD src0_sel:WORD_1 src1_sel:DWORD
	s_waitcnt vmcnt(12)
	v_lshrrev_b32_e32 v14, 16, v21
	v_fma_f16 v13, v17, v13, -v31
	v_mul_f16_sdwa v15, v18, v21 dst_sel:DWORD dst_unused:UNUSED_PAD src0_sel:WORD_1 src1_sel:DWORD
	ds_write2_b32 v36, v6, v7 offset0:11 offset1:22
	v_pack_b32_f16 v6, v12, v11
	v_fmac_f16_e32 v10, v17, v16
	v_mul_f16_sdwa v7, v18, v14 dst_sel:DWORD dst_unused:UNUSED_PAD src0_sel:WORD_1 src1_sel:DWORD
	s_waitcnt vmcnt(9)
	v_lshrrev_b32_e32 v11, 16, v27
	v_fma_f16 v12, v18, v14, -v15
	v_mul_f16_sdwa v14, v19, v27 dst_sel:DWORD dst_unused:UNUSED_PAD src0_sel:WORD_1 src1_sel:DWORD
	v_pack_b32_f16 v10, v10, v13
	v_fmac_f16_e32 v7, v18, v21
	v_mul_f16_sdwa v13, v19, v11 dst_sel:DWORD dst_unused:UNUSED_PAD src0_sel:WORD_1 src1_sel:DWORD
	s_waitcnt vmcnt(8)
	v_lshrrev_b32_e32 v15, 16, v28
	v_mul_f16_sdwa v16, v20, v28 dst_sel:DWORD dst_unused:UNUSED_PAD src0_sel:WORD_1 src1_sel:DWORD
	v_fma_f16 v11, v19, v11, -v14
	v_pack_b32_f16 v7, v7, v12
	v_fmac_f16_e32 v13, v19, v27
	v_mul_f16_sdwa v12, v20, v15 dst_sel:DWORD dst_unused:UNUSED_PAD src0_sel:WORD_1 src1_sel:DWORD
	v_fma_f16 v14, v20, v15, -v16
	s_waitcnt vmcnt(7)
	v_lshrrev_b32_e32 v15, 16, v29
	v_mul_f16_sdwa v16, v22, v29 dst_sel:DWORD dst_unused:UNUSED_PAD src0_sel:WORD_1 src1_sel:DWORD
	v_pack_b32_f16 v11, v13, v11
	v_fmac_f16_e32 v12, v20, v28
	s_waitcnt vmcnt(6)
	v_lshrrev_b32_e32 v13, 16, v30
	v_mul_f16_sdwa v18, v25, v30 dst_sel:DWORD dst_unused:UNUSED_PAD src0_sel:WORD_1 src1_sel:DWORD
	v_mul_f16_sdwa v17, v22, v15 dst_sel:DWORD dst_unused:UNUSED_PAD src0_sel:WORD_1 src1_sel:DWORD
	v_fma_f16 v15, v22, v15, -v16
	s_waitcnt vmcnt(5)
	v_lshrrev_b32_e32 v16, 16, v0
	v_pack_b32_f16 v12, v12, v14
	v_mul_f16_sdwa v14, v25, v13 dst_sel:DWORD dst_unused:UNUSED_PAD src0_sel:WORD_1 src1_sel:DWORD
	v_fma_f16 v13, v25, v13, -v18
	s_waitcnt vmcnt(4)
	v_mul_f16_sdwa v18, v1, v0 dst_sel:DWORD dst_unused:UNUSED_PAD src0_sel:WORD_1 src1_sel:DWORD
	s_waitcnt vmcnt(3)
	v_lshrrev_b32_e32 v19, 16, v2
	s_waitcnt vmcnt(2)
	v_lshrrev_b32_e32 v20, 16, v3
	v_mul_f16_sdwa v21, v1, v16 dst_sel:DWORD dst_unused:UNUSED_PAD src0_sel:WORD_1 src1_sel:DWORD
	v_fmac_f16_e32 v17, v22, v29
	v_fmac_f16_e32 v14, v25, v30
	v_fma_f16 v16, v1, v16, -v18
	s_waitcnt vmcnt(1)
	v_mul_f16_sdwa v18, v4, v2 dst_sel:DWORD dst_unused:UNUSED_PAD src0_sel:WORD_1 src1_sel:DWORD
	v_mul_f16_sdwa v22, v4, v19 dst_sel:DWORD dst_unused:UNUSED_PAD src0_sel:WORD_1 src1_sel:DWORD
	s_waitcnt vmcnt(0)
	v_mul_f16_sdwa v25, v5, v20 dst_sel:DWORD dst_unused:UNUSED_PAD src0_sel:WORD_1 src1_sel:DWORD
	v_mul_f16_sdwa v27, v5, v3 dst_sel:DWORD dst_unused:UNUSED_PAD src0_sel:WORD_1 src1_sel:DWORD
	v_fmac_f16_e32 v21, v1, v0
	v_fma_f16 v0, v4, v19, -v18
	v_fmac_f16_e32 v22, v4, v2
	v_fmac_f16_e32 v25, v5, v3
	v_fma_f16 v1, v5, v20, -v27
	v_pack_b32_f16 v2, v17, v15
	v_pack_b32_f16 v3, v14, v13
	;; [unrolled: 1-line block ×5, first 2 shown]
	ds_write2_b32 v36, v6, v10 offset0:33 offset1:44
	ds_write2_b32 v36, v7, v11 offset0:55 offset1:66
	;; [unrolled: 1-line block ×5, first 2 shown]
.LBB0_3:
	s_or_b32 exec_lo, exec_lo, s1
	s_clause 0x1
	s_load_dwordx2 s[0:1], s[4:5], 0x20
	s_load_dwordx2 s[4:5], s[4:5], 0x8
	s_waitcnt lgkmcnt(0)
	s_barrier
	buffer_gl0_inv
                                        ; implicit-def: $vgpr0
                                        ; implicit-def: $vgpr5
                                        ; implicit-def: $vgpr21
                                        ; implicit-def: $vgpr2
                                        ; implicit-def: $vgpr20
                                        ; implicit-def: $vgpr19
                                        ; implicit-def: $vgpr6
                                        ; implicit-def: $vgpr18
                                        ; implicit-def: $vgpr17
                                        ; implicit-def: $vgpr15
                                        ; implicit-def: $vgpr16
                                        ; implicit-def: $vgpr22
                                        ; implicit-def: $vgpr12
                                        ; implicit-def: $vgpr25
                                        ; implicit-def: $vgpr31
                                        ; implicit-def: $vgpr14
                                        ; implicit-def: $vgpr32
                                        ; implicit-def: $vgpr33
                                        ; implicit-def: $vgpr34
	s_and_saveexec_b32 s2, vcc_lo
	s_cbranch_execz .LBB0_5
; %bb.4:
	v_lshl_add_u32 v10, v9, 2, v23
	ds_read2_b32 v[0:1], v10 offset1:11
	ds_read2_b32 v[13:14], v10 offset0:22 offset1:33
	ds_read2_b32 v[11:12], v10 offset0:44 offset1:55
	;; [unrolled: 1-line block ×5, first 2 shown]
	ds_read_b32 v15, v10 offset:528
	s_waitcnt lgkmcnt(6)
	v_lshrrev_b32_e32 v34, 16, v1
	s_waitcnt lgkmcnt(5)
	v_lshrrev_b32_e32 v33, 16, v13
	v_lshrrev_b32_e32 v32, 16, v14
	s_waitcnt lgkmcnt(4)
	v_lshrrev_b32_e32 v31, 16, v11
	;; [unrolled: 3-line block ×6, first 2 shown]
.LBB0_5:
	s_or_b32 exec_lo, exec_lo, s2
	v_sub_f16_e32 v67, v34, v16
	v_sub_f16_e32 v77, v1, v15
	v_add_f16_e32 v35, v15, v1
	v_add_f16_e32 v37, v16, v34
	v_sub_f16_e32 v78, v13, v7
	v_mul_f16_e32 v47, 0xb770, v67
	v_mul_f16_e32 v51, 0xb770, v77
	;; [unrolled: 1-line block ×3, first 2 shown]
	v_sub_f16_e32 v69, v33, v17
	v_add_f16_e32 v36, v7, v13
	v_fmamk_f16 v10, v35, 0x3b15, v47
	v_fma_f16 v27, v37, 0x3b15, -v51
	v_mul_f16_e32 v65, 0xba95, v77
	v_fmamk_f16 v28, v35, 0x388b, v58
	v_mul_f16_e32 v48, 0xba95, v69
	v_add_f16_e32 v38, v17, v33
	v_mul_f16_e32 v53, 0xba95, v78
	v_mul_f16_e32 v59, 0xbb7b, v69
	v_add_f16_e32 v10, v10, v0
	v_add_f16_sdwa v27, v27, v0 dst_sel:DWORD dst_unused:UNUSED_PAD src0_sel:DWORD src1_sel:WORD_1
	v_fma_f16 v29, v37, 0x388b, -v65
	v_fmamk_f16 v30, v36, 0x388b, v48
	v_add_f16_e32 v28, v28, v0
	v_fma_f16 v39, v38, 0x388b, -v53
	v_fmamk_f16 v40, v36, 0xb5ac, v59
	v_mul_f16_e32 v70, 0xbb7b, v78
	v_sub_f16_e32 v72, v32, v18
	v_sub_f16_e32 v81, v14, v6
	v_add_f16_sdwa v29, v29, v0 dst_sel:DWORD dst_unused:UNUSED_PAD src0_sel:DWORD src1_sel:WORD_1
	v_add_f16_e32 v10, v30, v10
	v_add_f16_e32 v27, v39, v27
	;; [unrolled: 1-line block ×3, first 2 shown]
	v_fma_f16 v30, v38, 0xb5ac, -v70
	v_add_f16_e32 v39, v6, v14
	v_mul_f16_e32 v52, 0xbbf1, v72
	v_add_f16_e32 v40, v18, v32
	v_mul_f16_e32 v54, 0xbbf1, v81
	v_sub_f16_e32 v73, v31, v19
	v_sub_f16_e32 v82, v11, v3
	v_add_f16_e32 v29, v30, v29
	v_mul_f16_e32 v64, 0xb3a8, v72
	v_fmamk_f16 v30, v39, 0x2fb7, v52
	v_fma_f16 v43, v40, 0x2fb7, -v54
	v_mul_f16_e32 v75, 0xb3a8, v81
	v_add_f16_e32 v41, v3, v11
	v_mul_f16_e32 v55, 0xbb7b, v73
	v_add_f16_e32 v42, v19, v31
	v_mul_f16_e32 v57, 0xbb7b, v82
	v_fmamk_f16 v44, v39, 0xbbc4, v64
	v_add_f16_e32 v10, v30, v10
	v_add_f16_e32 v27, v43, v27
	v_fma_f16 v30, v40, 0xbbc4, -v75
	v_fmamk_f16 v43, v41, 0xb5ac, v55
	v_fma_f16 v45, v42, 0xb5ac, -v57
	v_mul_f16_e32 v68, 0x394e, v73
	v_sub_f16_e32 v76, v25, v20
	v_mul_f16_e32 v79, 0x394e, v82
	v_add_f16_e32 v28, v44, v28
	v_add_f16_e32 v29, v30, v29
	v_add_f16_e32 v10, v43, v10
	v_add_f16_e32 v27, v45, v27
	v_fmamk_f16 v30, v41, 0xb9fd, v68
	v_sub_f16_e32 v83, v12, v2
	v_add_f16_e32 v43, v2, v12
	v_mul_f16_e32 v56, 0xb94e, v76
	v_fma_f16 v45, v42, 0xb9fd, -v79
	v_mul_f16_e32 v66, 0x3bf1, v76
	v_add_f16_e32 v44, v20, v25
	v_mul_f16_e32 v62, 0xb94e, v83
	v_fmamk_f16 v46, v43, 0xb9fd, v56
	v_add_f16_e32 v28, v30, v28
	v_add_f16_e32 v29, v45, v29
	v_fmamk_f16 v45, v43, 0x2fb7, v66
	v_mul_f16_e32 v80, 0x3bf1, v83
	v_sub_f16_e32 v60, v22, v21
	v_sub_f16_e32 v84, v4, v5
	v_fma_f16 v30, v44, 0xb9fd, -v62
	v_add_f16_e32 v10, v46, v10
	v_add_f16_e32 v49, v45, v28
	v_fma_f16 v28, v44, 0x2fb7, -v80
	v_add_f16_e32 v45, v5, v4
	v_mul_f16_e32 v61, 0xb3a8, v60
	v_add_f16_e32 v46, v21, v22
	v_mul_f16_e32 v63, 0xb3a8, v84
	v_mul_f16_e32 v74, 0x3770, v84
	;; [unrolled: 1-line block ×3, first 2 shown]
	v_add_f16_e32 v27, v30, v27
	v_add_f16_e32 v30, v28, v29
	v_fmamk_f16 v28, v45, 0xbbc4, v61
	v_fma_f16 v29, v46, 0xbbc4, -v63
	v_fma_f16 v50, v46, 0x3b15, -v74
	v_fmamk_f16 v85, v45, 0x3b15, v71
	v_add_f16_e32 v28, v28, v10
	v_add_f16_e32 v29, v29, v27
	;; [unrolled: 1-line block ×4, first 2 shown]
	v_mul_lo_u16 v27, v24, 13
	s_barrier
	buffer_gl0_inv
	s_and_saveexec_b32 s2, vcc_lo
	s_cbranch_execz .LBB0_7
; %bb.6:
	v_mul_f16_e32 v85, 0xb3a8, v77
	v_mul_f16_e32 v86, 0xb3a8, v67
	;; [unrolled: 1-line block ×5, first 2 shown]
	v_fmamk_f16 v49, v37, 0xbbc4, v85
	v_fma_f16 v50, v35, 0xbbc4, -v86
	v_fmamk_f16 v91, v38, 0x3b15, v87
	v_fma_f16 v92, v36, 0x3b15, -v89
	v_mul_f16_e32 v93, 0x3a95, v82
	v_add_f16_sdwa v49, v49, v0 dst_sel:DWORD dst_unused:UNUSED_PAD src0_sel:DWORD src1_sel:WORD_1
	v_add_f16_e32 v50, v50, v0
	v_fmamk_f16 v94, v40, 0xb9fd, v88
	v_mul_f16_e32 v98, 0x3bf1, v78
	v_fmamk_f16 v96, v42, 0x388b, v93
	v_add_f16_e32 v49, v91, v49
	v_add_f16_e32 v50, v92, v50
	v_mul_f16_e32 v92, 0xb94e, v77
	v_mul_f16_e32 v90, 0xb94e, v72
	v_fmamk_f16 v100, v38, 0x2fb7, v98
	v_add_f16_e32 v49, v94, v49
	v_mul_f16_e32 v94, 0xbb7b, v83
	v_fmamk_f16 v97, v37, 0xb9fd, v92
	v_mul_f16_e32 v101, 0xba95, v81
	v_fma_f16 v95, v39, 0xb9fd, -v90
	v_add_f16_e32 v49, v96, v49
	v_fmamk_f16 v96, v44, 0xb5ac, v94
	v_add_f16_sdwa v97, v97, v0 dst_sel:DWORD dst_unused:UNUSED_PAD src0_sel:DWORD src1_sel:WORD_1
	v_mul_f16_e32 v91, 0x3a95, v73
	v_mul_f16_e32 v107, 0xbb7b, v77
	v_add_f16_e32 v50, v95, v50
	v_add_f16_e32 v49, v96, v49
	;; [unrolled: 1-line block ×3, first 2 shown]
	v_fmamk_f16 v97, v40, 0x388b, v101
	v_mul_f16_e32 v100, 0x33a8, v82
	v_fma_f16 v95, v41, 0x388b, -v91
	v_mul_f16_e32 v99, 0xbb7b, v76
	v_mul_f16_e32 v103, 0x3770, v83
	v_add_f16_e32 v96, v97, v96
	v_fmamk_f16 v97, v42, 0xbbc4, v100
	v_fmamk_f16 v111, v37, 0xb5ac, v107
	v_mul_f16_e32 v112, 0x394e, v78
	v_add_f16_e32 v50, v95, v50
	v_fma_f16 v95, v43, 0xb5ac, -v99
	v_add_f16_e32 v96, v97, v96
	v_fmamk_f16 v97, v44, 0x3b15, v103
	v_add_f16_sdwa v111, v111, v0 dst_sel:DWORD dst_unused:UNUSED_PAD src0_sel:DWORD src1_sel:WORD_1
	v_fmamk_f16 v114, v38, 0xb9fd, v112
	v_mul_f16_e32 v115, 0x3770, v81
	v_add_f16_e32 v50, v95, v50
	v_mul_f16_e32 v95, 0x3bf1, v84
	v_mul_f16_e32 v102, 0x3bf1, v60
	v_add_f16_e32 v96, v97, v96
	v_mul_f16_e32 v97, 0xbb7b, v84
	v_add_f16_e32 v111, v114, v111
	v_fmamk_f16 v114, v40, 0x3b15, v115
	v_mul_f16_e32 v117, 0xbbf1, v82
	v_fmamk_f16 v104, v46, 0x2fb7, v95
	v_fma_f16 v105, v45, 0x2fb7, -v102
	v_mul_f16_e32 v106, 0xb94e, v67
	v_fmamk_f16 v110, v46, 0xb5ac, v97
	v_add_f16_e32 v111, v114, v111
	v_fmamk_f16 v114, v42, 0x2fb7, v117
	v_mul_f16_e32 v119, 0x33a8, v83
	v_mul_f16_e32 v120, 0xbb7b, v67
	v_add_f16_e32 v49, v104, v49
	v_add_f16_e32 v50, v105, v50
	v_fma_f16 v104, v35, 0xb9fd, -v106
	v_mul_f16_e32 v105, 0x3bf1, v69
	v_add_f16_e32 v96, v110, v96
	v_add_f16_e32 v110, v114, v111
	v_fma_f16 v111, v35, 0xb5ac, -v120
	v_mul_f16_e32 v114, 0x394e, v69
	v_fmamk_f16 v121, v44, 0xbbc4, v119
	v_mul_f16_e32 v77, 0xbbf1, v77
	v_add_f16_e32 v104, v104, v0
	v_fma_f16 v108, v36, 0x2fb7, -v105
	v_mul_f16_e32 v109, 0xba95, v72
	v_add_f16_e32 v111, v111, v0
	v_fma_f16 v123, v36, 0xb9fd, -v114
	v_mul_f16_e32 v124, 0x3770, v72
	v_add_f16_e32 v110, v121, v110
	v_fmamk_f16 v121, v37, 0x2fb7, v77
	v_mul_f16_e32 v78, 0xb3a8, v78
	v_add_f16_e32 v104, v108, v104
	v_fma_f16 v108, v39, 0x388b, -v109
	v_mul_f16_e32 v113, 0x33a8, v73
	v_add_f16_e32 v111, v123, v111
	v_fma_f16 v123, v39, 0x3b15, -v124
	v_mul_f16_e32 v125, 0xbbf1, v73
	v_add_f16_sdwa v121, v121, v0 dst_sel:DWORD dst_unused:UNUSED_PAD src0_sel:DWORD src1_sel:WORD_1
	v_fmamk_f16 v126, v38, 0xbbc4, v78
	v_mul_f16_e32 v81, 0x3b7b, v81
	v_add_f16_e32 v104, v108, v104
	v_fma_f16 v108, v41, 0xbbc4, -v113
	v_mul_f16_e32 v116, 0x3770, v76
	v_add_f16_e32 v111, v123, v111
	v_fma_f16 v123, v41, 0x2fb7, -v125
	v_mul_f16_e32 v127, 0x33a8, v76
	v_add_f16_e32 v121, v126, v121
	v_fmamk_f16 v126, v40, 0xb5ac, v81
	v_mul_f16_e32 v82, 0x3770, v82
	v_add_f16_e32 v104, v108, v104
	v_fma_f16 v108, v43, 0x3b15, -v116
	v_mul_f16_e32 v118, 0xbb7b, v60
	v_mul_f16_e32 v122, 0x3a95, v84
	v_add_f16_e32 v111, v123, v111
	v_fma_f16 v123, v43, 0xbbc4, -v127
	v_mul_f16_e32 v128, 0x3a95, v60
	v_add_f16_e32 v121, v126, v121
	v_fmamk_f16 v126, v42, 0x3b15, v82
	v_mul_f16_e32 v83, 0xba95, v83
	v_add_f16_e32 v104, v108, v104
	v_fma_f16 v108, v45, 0xb5ac, -v118
	v_fmamk_f16 v129, v46, 0x388b, v122
	v_add_f16_e32 v111, v123, v111
	v_fma_f16 v123, v45, 0x388b, -v128
	v_add_f16_e32 v121, v126, v121
	v_fmamk_f16 v126, v44, 0x388b, v83
	v_add_f16_e32 v104, v108, v104
	v_add_f16_e32 v108, v129, v110
	v_mul_f16_e32 v67, 0xbbf1, v67
	v_add_f16_e32 v110, v123, v111
	v_add_f16_e32 v111, v126, v121
	v_mul_f16_e32 v121, 0x388b, v37
	v_mul_f16_e32 v69, 0xb3a8, v69
	v_fma_f16 v123, v35, 0x2fb7, -v67
	v_mul_f16_e32 v126, 0xb5ac, v38
	v_mul_f16_e32 v72, 0x3b7b, v72
	v_add_f16_e32 v65, v65, v121
	v_mul_f16_e32 v73, 0x3770, v73
	v_add_f16_e32 v121, v123, v0
	v_fma_f16 v123, v36, 0xbbc4, -v69
	v_add_f16_e32 v70, v70, v126
	v_add_f16_sdwa v65, v65, v0 dst_sel:DWORD dst_unused:UNUSED_PAD src0_sel:DWORD src1_sel:WORD_1
	v_mul_f16_e32 v126, 0xbbc4, v40
	v_fmac_f16_e32 v86, 0xbbc4, v35
	v_add_f16_e32 v121, v123, v121
	v_fma_f16 v123, v39, 0xb5ac, -v72
	v_add_f16_e32 v65, v70, v65
	v_add_f16_e32 v70, v75, v126
	v_mul_f16_e32 v75, 0x388b, v35
	v_mul_f16_e32 v126, 0xb5ac, v36
	v_add_f16_e32 v121, v123, v121
	v_mul_f16_e32 v123, 0xb9fd, v42
	v_add_f16_e32 v65, v70, v65
	v_sub_f16_e32 v58, v75, v58
	v_sub_f16_e32 v59, v126, v59
	v_fma_f16 v75, v41, 0x3b15, -v73
	v_add_f16_e32 v70, v79, v123
	v_mul_f16_e32 v79, 0xbbc4, v39
	v_add_f16_e32 v58, v58, v0
	v_fmac_f16_e32 v89, 0x3b15, v36
	v_add_f16_e32 v75, v75, v121
	v_mul_f16_e32 v121, 0x2fb7, v44
	v_sub_f16_e32 v64, v79, v64
	v_add_f16_e32 v58, v59, v58
	v_mul_f16_e32 v59, 0xba95, v76
	v_mul_f16_e32 v76, 0x3b15, v37
	;; [unrolled: 1-line block ×3, first 2 shown]
	v_add_f16_e32 v65, v70, v65
	v_add_f16_e32 v58, v64, v58
	v_mul_f16_e32 v64, 0x388b, v38
	v_add_f16_e32 v51, v51, v76
	v_sub_f16_e32 v68, v79, v68
	v_add_f16_e32 v70, v80, v121
	v_fmac_f16_e32 v106, 0xb9fd, v35
	v_add_f16_e32 v53, v53, v64
	v_add_f16_sdwa v51, v51, v0 dst_sel:DWORD dst_unused:UNUSED_PAD src0_sel:DWORD src1_sel:WORD_1
	v_add_f16_e32 v58, v68, v58
	v_mul_f16_e32 v68, 0x3b15, v35
	v_add_f16_e32 v65, v70, v65
	v_mul_f16_e32 v64, 0x2fb7, v40
	v_mul_f16_e32 v70, 0x2fb7, v43
	v_add_f16_e32 v51, v53, v51
	v_mul_f16_e32 v53, 0x388b, v36
	v_sub_f16_e32 v47, v68, v47
	v_add_f16_e32 v54, v54, v64
	v_sub_f16_e32 v64, v70, v66
	v_mul_f16_e32 v66, 0xb5ac, v42
	v_sub_f16_e32 v48, v53, v48
	v_add_f16_e32 v47, v47, v0
	v_add_f16_e32 v51, v54, v51
	v_mul_f16_e32 v54, 0x2fb7, v39
	v_add_f16_e32 v57, v57, v66
	v_fmac_f16_e32 v105, 0x2fb7, v36
	v_add_f16_e32 v47, v48, v47
	v_mul_f16_e32 v48, 0xb9fd, v44
	v_sub_f16_e32 v52, v54, v52
	v_mul_f16_e32 v54, 0xb5ac, v41
	v_add_f16_e32 v51, v57, v51
	v_mul_f16_e32 v57, 0x3b15, v45
	v_add_f16_e32 v48, v62, v48
	v_add_f16_e32 v47, v52, v47
	v_sub_f16_e32 v52, v54, v55
	v_add_f16_e32 v54, v64, v58
	v_sub_f16_e32 v55, v57, v71
	v_add_f16_e32 v48, v48, v51
	v_fma_f16 v51, v37, 0xbbc4, -v85
	v_add_f16_e32 v47, v52, v47
	v_mul_f16_e32 v52, 0xb9fd, v43
	v_mul_f16_e32 v57, 0xbbc4, v46
	;; [unrolled: 1-line block ×3, first 2 shown]
	v_add_f16_sdwa v51, v51, v0 dst_sel:DWORD dst_unused:UNUSED_PAD src0_sel:DWORD src1_sel:WORD_1
	v_fma_f16 v60, v38, 0x3b15, -v87
	v_sub_f16_e32 v52, v52, v56
	v_add_f16_e32 v56, v63, v57
	v_mul_f16_e32 v57, 0xbbc4, v45
	v_add_f16_e32 v54, v55, v54
	v_add_f16_e32 v51, v60, v51
	v_fma_f16 v60, v40, 0xb9fd, -v88
	v_add_f16_e32 v47, v52, v47
	v_sub_f16_e32 v52, v57, v61
	v_add_f16_e32 v55, v86, v0
	v_add_f16_e32 v61, v106, v0
	;; [unrolled: 1-line block ×3, first 2 shown]
	v_fma_f16 v60, v42, 0x388b, -v93
	v_add_f16_e32 v47, v52, v47
	v_add_f16_e32 v52, v89, v55
	v_fma_f16 v55, v37, 0xb9fd, -v92
	v_fma_f16 v80, v43, 0x388b, -v59
	v_add_f16_e32 v51, v60, v51
	v_fma_f16 v60, v44, 0xb5ac, -v94
	v_add_f16_e32 v48, v56, v48
	v_add_f16_sdwa v55, v55, v0 dst_sel:DWORD dst_unused:UNUSED_PAD src0_sel:DWORD src1_sel:WORD_1
	v_fma_f16 v56, v46, 0x2fb7, -v95
	v_add_f16_e32 v61, v105, v61
	v_add_f16_e32 v51, v60, v51
	v_fma_f16 v60, v38, 0x2fb7, -v98
	v_fmac_f16_e32 v109, 0x388b, v39
	v_add_f16_e32 v75, v80, v75
	v_fma_f16 v62, v45, 0xb9fd, -v58
	v_add_f16_e32 v51, v56, v51
	v_add_f16_e32 v55, v60, v55
	v_fma_f16 v60, v40, 0x388b, -v101
	v_fma_f16 v56, v42, 0xbbc4, -v100
	v_fmac_f16_e32 v113, 0xbbc4, v41
	v_add_f16_e32 v57, v62, v75
	v_fmac_f16_e32 v116, 0x3b15, v43
	v_add_f16_e32 v55, v60, v55
	v_add_f16_e32 v60, v109, v61
	v_fma_f16 v61, v37, 0xb5ac, -v107
	v_fma_f16 v62, v38, 0xb9fd, -v112
	v_add_f16_sdwa v34, v34, v0 dst_sel:DWORD dst_unused:UNUSED_PAD src0_sel:DWORD src1_sel:WORD_1
	v_add_f16_e32 v55, v56, v55
	v_fma_f16 v56, v44, 0x3b15, -v103
	v_add_f16_e32 v60, v113, v60
	v_add_f16_sdwa v61, v61, v0 dst_sel:DWORD dst_unused:UNUSED_PAD src0_sel:DWORD src1_sel:WORD_1
	v_add_f16_e32 v1, v1, v0
	v_fmac_f16_e32 v118, 0xb5ac, v45
	v_add_f16_e32 v55, v56, v55
	v_fma_f16 v56, v46, 0xb5ac, -v97
	v_add_f16_e32 v60, v116, v60
	v_add_f16_e32 v61, v62, v61
	v_fma_f16 v62, v40, 0x3b15, -v115
	v_fmac_f16_e32 v120, 0xb5ac, v35
	v_add_f16_e32 v33, v33, v34
	v_add_f16_e32 v1, v13, v1
	v_add_f16_e32 v55, v56, v55
	v_add_f16_e32 v56, v118, v60
	v_add_f16_e32 v60, v62, v61
	v_fma_f16 v61, v42, 0x2fb7, -v117
	v_add_f16_e32 v62, v120, v0
	v_fmac_f16_e32 v114, 0xb9fd, v36
	v_add_f16_e32 v32, v32, v33
	v_add_f16_e32 v1, v14, v1
	v_add_f16_e32 v60, v61, v60
	v_fma_f16 v61, v44, 0xbbc4, -v119
	v_add_f16_e32 v13, v114, v62
	v_fmac_f16_e32 v124, 0x3b15, v39
	v_add_f16_e32 v31, v31, v32
	v_add_f16_e32 v1, v11, v1
	v_add_f16_e32 v34, v61, v60
	;; [unrolled: 6-line block ×3, first 2 shown]
	v_fma_f16 v14, v37, 0x2fb7, -v77
	v_add_f16_e32 v13, v125, v13
	v_fmac_f16_e32 v127, 0xbbc4, v43
	v_add_f16_e32 v22, v22, v25
	v_add_f16_e32 v1, v4, v1
	v_add_f16_sdwa v12, v14, v0 dst_sel:DWORD dst_unused:UNUSED_PAD src0_sel:DWORD src1_sel:WORD_1
	v_fma_f16 v14, v38, 0xbbc4, -v78
	v_add_f16_e32 v4, v127, v13
	v_add_f16_e32 v13, v21, v22
	;; [unrolled: 1-line block ×3, first 2 shown]
	v_fmac_f16_e32 v67, 0x2fb7, v35
	v_add_f16_e32 v12, v14, v12
	v_fma_f16 v5, v40, 0xb5ac, -v81
	v_add_f16_e32 v13, v20, v13
	v_add_f16_e32 v1, v2, v1
	v_add_f16_e32 v0, v67, v0
	v_fmac_f16_e32 v69, 0xbbc4, v36
	v_add_f16_e32 v2, v5, v12
	v_fma_f16 v5, v42, 0x3b15, -v82
	v_add_f16_e32 v12, v19, v13
	v_add_f16_e32 v1, v3, v1
	v_fmac_f16_e32 v90, 0xb9fd, v39
	v_add_f16_e32 v0, v69, v0
	v_fmac_f16_e32 v72, 0xb5ac, v39
	v_add_f16_e32 v2, v5, v2
	v_add_f16_e32 v5, v18, v12
	;; [unrolled: 1-line block ×3, first 2 shown]
	v_mul_f16_e32 v53, 0x3b15, v46
	v_add_f16_e32 v52, v90, v52
	v_fmac_f16_e32 v91, 0x388b, v41
	v_add_f16_e32 v0, v72, v0
	v_fmac_f16_e32 v73, 0x3b15, v41
	v_mul_f16_e32 v84, 0xb94e, v84
	v_fma_f16 v3, v44, 0x388b, -v83
	v_add_f16_e32 v5, v17, v5
	v_add_f16_e32 v1, v7, v1
	;; [unrolled: 1-line block ×4, first 2 shown]
	v_fmac_f16_e32 v99, 0xb5ac, v43
	v_add_f16_e32 v0, v73, v0
	v_fmac_f16_e32 v59, 0x388b, v43
	v_fmamk_f16 v129, v46, 0xb9fd, v84
	v_add_f16_e32 v2, v3, v2
	v_add_f16_sdwa v3, v16, v5 dst_sel:WORD_1 dst_unused:UNUSED_PAD src0_sel:DWORD src1_sel:DWORD
	v_add_f16_e32 v1, v15, v1
	v_and_b32_e32 v5, 0xffff, v27
	v_add_f16_e32 v53, v53, v65
	v_add_f16_e32 v52, v99, v52
	v_fmac_f16_e32 v102, 0x2fb7, v45
	v_fmac_f16_e32 v128, 0x388b, v45
	v_fma_f16 v6, v46, 0xb9fd, -v84
	v_add_f16_e32 v0, v59, v0
	v_fmac_f16_e32 v58, 0xb9fd, v45
	v_add_f16_e32 v111, v129, v111
	v_or_b32_sdwa v1, v3, v1 dst_sel:DWORD dst_unused:UNUSED_PAD src0_sel:DWORD src1_sel:WORD_0
	v_add_lshl_u32 v3, v9, v5, 2
	v_pack_b32_f16 v5, v54, v53
	v_pack_b32_f16 v7, v47, v48
	v_add_f16_e32 v52, v102, v52
	v_add_f16_e32 v4, v128, v4
	;; [unrolled: 1-line block ×4, first 2 shown]
	ds_write_b32 v3, v1
	ds_write2_b32 v3, v7, v5 offset0:1 offset1:2
	v_pack_b32_f16 v1, v110, v108
	v_pack_b32_f16 v5, v57, v111
	;; [unrolled: 1-line block ×8, first 2 shown]
	v_perm_b32 v4, v29, v28, 0x5040100
	v_perm_b32 v11, v30, v10, 0x5040100
	ds_write2_b32 v3, v5, v1 offset0:3 offset1:4
	ds_write2_b32 v3, v7, v6 offset0:5 offset1:6
	;; [unrolled: 1-line block ×5, first 2 shown]
.LBB0_7:
	s_or_b32 exec_lo, exec_lo, s2
	v_mul_u32_u24_e32 v0, 10, v24
	s_load_dwordx4 s[0:3], s[0:1], 0x0
	s_waitcnt lgkmcnt(0)
	s_barrier
	buffer_gl0_inv
	v_lshlrev_b32_e32 v11, 2, v0
	v_add_lshl_u32 v31, v9, v24, 2
	v_lshl_add_u32 v25, v24, 2, v26
	s_clause 0x2
	global_load_dwordx4 v[4:7], v11, s[4:5]
	global_load_dwordx4 v[0:3], v11, s[4:5] offset:16
	global_load_dwordx2 v[11:12], v11, s[4:5] offset:32
	ds_read2_b32 v[13:14], v31 offset1:13
	ds_read2_b32 v[15:16], v31 offset0:26 offset1:39
	ds_read2_b32 v[17:18], v31 offset0:52 offset1:65
	;; [unrolled: 1-line block ×4, first 2 shown]
	ds_read_b32 v9, v31 offset:520
	s_waitcnt lgkmcnt(5)
	v_lshrrev_b32_e32 v32, 16, v14
	s_waitcnt lgkmcnt(4)
	v_lshrrev_b32_e32 v33, 16, v15
	v_lshrrev_b32_e32 v34, 16, v16
	s_waitcnt lgkmcnt(3)
	v_lshrrev_b32_e32 v35, 16, v17
	s_waitcnt lgkmcnt(1)
	;; [unrolled: 2-line block ×3, first 2 shown]
	v_lshrrev_b32_e32 v41, 16, v9
	v_lshrrev_b32_e32 v36, 16, v18
	;; [unrolled: 1-line block ×5, first 2 shown]
	s_waitcnt vmcnt(2)
	v_mul_f16_sdwa v42, v32, v4 dst_sel:DWORD dst_unused:UNUSED_PAD src0_sel:DWORD src1_sel:WORD_1
	v_mul_f16_sdwa v43, v14, v4 dst_sel:DWORD dst_unused:UNUSED_PAD src0_sel:DWORD src1_sel:WORD_1
	;; [unrolled: 1-line block ×4, first 2 shown]
	s_waitcnt vmcnt(0)
	v_mul_f16_sdwa v58, v40, v11 dst_sel:DWORD dst_unused:UNUSED_PAD src0_sel:DWORD src1_sel:WORD_1
	v_mul_f16_sdwa v60, v41, v12 dst_sel:DWORD dst_unused:UNUSED_PAD src0_sel:DWORD src1_sel:WORD_1
	;; [unrolled: 1-line block ×3, first 2 shown]
	v_fma_f16 v14, v14, v4, -v42
	v_fmac_f16_e32 v43, v32, v4
	v_mul_f16_sdwa v46, v34, v6 dst_sel:DWORD dst_unused:UNUSED_PAD src0_sel:DWORD src1_sel:WORD_1
	v_mul_f16_sdwa v47, v16, v6 dst_sel:DWORD dst_unused:UNUSED_PAD src0_sel:DWORD src1_sel:WORD_1
	;; [unrolled: 1-line block ×13, first 2 shown]
	v_fma_f16 v15, v15, v5, -v44
	v_fmac_f16_e32 v45, v33, v5
	v_fma_f16 v42, v22, v11, -v58
	v_fma_f16 v44, v9, v12, -v60
	v_fmac_f16_e32 v61, v41, v12
	v_add_f16_e32 v9, v14, v13
	v_add_f16_sdwa v22, v43, v13 dst_sel:DWORD dst_unused:UNUSED_PAD src0_sel:DWORD src1_sel:WORD_1
	v_fma_f16 v16, v16, v6, -v46
	v_fmac_f16_e32 v47, v34, v6
	v_fma_f16 v17, v17, v7, -v48
	v_fmac_f16_e32 v49, v35, v7
	v_fma_f16 v18, v18, v0, -v50
	v_fmac_f16_e32 v51, v36, v0
	v_fma_f16 v19, v19, v1, -v52
	v_fmac_f16_e32 v53, v37, v1
	v_fma_f16 v20, v20, v2, -v54
	v_fmac_f16_e32 v55, v38, v2
	v_fma_f16 v21, v21, v3, -v56
	v_fmac_f16_e32 v57, v39, v3
	v_fmac_f16_e32 v59, v40, v11
	v_add_f16_e32 v32, v14, v44
	v_sub_f16_e32 v14, v14, v44
	v_sub_f16_e32 v34, v43, v61
	v_add_f16_e32 v35, v15, v42
	v_sub_f16_e32 v37, v15, v42
	v_add_f16_e32 v9, v9, v15
	v_add_f16_e32 v15, v22, v45
	;; [unrolled: 1-line block ×4, first 2 shown]
	v_sub_f16_e32 v38, v45, v59
	v_sub_f16_e32 v41, v16, v21
	;; [unrolled: 1-line block ×7, first 2 shown]
	v_mul_f16_e32 v22, 0xb853, v34
	v_mul_f16_e32 v45, 0xb853, v14
	;; [unrolled: 1-line block ×10, first 2 shown]
	v_add_f16_e32 v9, v9, v16
	v_add_f16_e32 v15, v15, v47
	;; [unrolled: 1-line block ×8, first 2 shown]
	v_mul_f16_e32 v68, 0xbb47, v38
	v_mul_f16_e32 v69, 0xbb47, v37
	;; [unrolled: 1-line block ×40, first 2 shown]
	v_fma_f16 v16, v32, 0x3abb, -v22
	v_fmamk_f16 v47, v33, 0x3abb, v45
	v_fmac_f16_e32 v22, 0x3abb, v32
	v_fma_f16 v45, v33, 0x3abb, -v45
	v_fma_f16 v100, v32, 0x36a6, -v62
	v_fmamk_f16 v101, v33, 0x36a6, v63
	v_fmac_f16_e32 v62, 0x36a6, v32
	v_fma_f16 v63, v33, 0x36a6, -v63
	;; [unrolled: 4-line block ×5, first 2 shown]
	v_add_f16_e32 v9, v9, v17
	v_add_f16_e32 v15, v15, v49
	v_fma_f16 v32, v35, 0x36a6, -v68
	v_fmamk_f16 v33, v36, 0x36a6, v69
	v_fmac_f16_e32 v68, 0x36a6, v35
	v_fma_f16 v69, v36, 0x36a6, -v69
	v_fma_f16 v108, v35, 0xb93d, -v70
	v_fmamk_f16 v109, v36, 0xb93d, v71
	v_fmac_f16_e32 v70, 0xb93d, v35
	v_fma_f16 v71, v36, 0xb93d, -v71
	;; [unrolled: 4-line block ×20, first 2 shown]
	v_add_f16_e32 v16, v16, v13
	v_add_f16_sdwa v17, v47, v13 dst_sel:DWORD dst_unused:UNUSED_PAD src0_sel:DWORD src1_sel:WORD_1
	v_add_f16_e32 v22, v22, v13
	v_add_f16_sdwa v45, v45, v13 dst_sel:DWORD dst_unused:UNUSED_PAD src0_sel:DWORD src1_sel:WORD_1
	;; [unrolled: 2-line block ×10, first 2 shown]
	v_add_f16_e32 v9, v9, v18
	v_add_f16_e32 v14, v15, v51
	;; [unrolled: 1-line block ×87, first 2 shown]
	v_add_f16_sdwa v42, v42, v61 dst_sel:WORD_1 dst_unused:UNUSED_PAD src0_sel:DWORD src1_sel:DWORD
	v_add_f16_e32 v20, v98, v47
	v_add_f16_e32 v35, v99, v49
	;; [unrolled: 1-line block ×4, first 2 shown]
	v_pack_b32_f16 v45, v17, v40
	v_pack_b32_f16 v46, v18, v39
	;; [unrolled: 1-line block ×4, first 2 shown]
	v_or_b32_sdwa v13, v42, v13 dst_sel:DWORD dst_unused:UNUSED_PAD src0_sel:DWORD src1_sel:WORD_0
	v_pack_b32_f16 v49, v19, v36
	v_pack_b32_f16 v50, v20, v35
	;; [unrolled: 1-line block ×6, first 2 shown]
	ds_write2_b32 v25, v45, v46 offset0:26 offset1:39
	ds_write2_b32 v25, v47, v48 offset0:52 offset1:65
	ds_write2_b32 v25, v49, v50 offset0:78 offset1:91
	ds_write2_b32 v25, v44, v51 offset0:104 offset1:117
	ds_write_b32 v25, v52 offset:520
	ds_write2_b32 v25, v13, v43 offset1:13
	s_waitcnt lgkmcnt(0)
	s_barrier
	buffer_gl0_inv
	s_and_saveexec_b32 s8, vcc_lo
	s_cbranch_execz .LBB0_9
; %bb.8:
	s_add_u32 s4, s20, 0x23c
	s_addc_u32 s5, s21, 0
	s_clause 0xc
	global_load_dword v54, v23, s[20:21] offset:572
	global_load_dword v55, v23, s[4:5] offset:44
	global_load_dword v56, v23, s[4:5] offset:88
	global_load_dword v57, v23, s[4:5] offset:132
	global_load_dword v58, v23, s[4:5] offset:176
	global_load_dword v59, v23, s[4:5] offset:220
	global_load_dword v60, v23, s[4:5] offset:264
	global_load_dword v61, v23, s[4:5] offset:308
	global_load_dword v62, v23, s[4:5] offset:352
	global_load_dword v63, v23, s[4:5] offset:396
	global_load_dword v64, v23, s[4:5] offset:440
	global_load_dword v65, v23, s[4:5] offset:484
	global_load_dword v66, v23, s[4:5] offset:528
	ds_read2_b32 v[42:43], v25 offset1:11
	ds_read2_b32 v[44:45], v25 offset0:22 offset1:33
	ds_read2_b32 v[46:47], v25 offset0:44 offset1:55
	ds_read2_b32 v[48:49], v25 offset0:66 offset1:77
	ds_read2_b32 v[50:51], v25 offset0:88 offset1:99
	ds_read2_b32 v[52:53], v25 offset0:110 offset1:121
	ds_read_b32 v67, v25 offset:528
	s_waitcnt lgkmcnt(6)
	v_lshrrev_b32_e32 v68, 16, v42
	v_lshrrev_b32_e32 v69, 16, v43
	s_waitcnt lgkmcnt(5)
	v_lshrrev_b32_e32 v70, 16, v44
	v_lshrrev_b32_e32 v71, 16, v45
	;; [unrolled: 3-line block ×6, first 2 shown]
	s_waitcnt lgkmcnt(0)
	v_lshrrev_b32_e32 v80, 16, v67
	s_waitcnt vmcnt(12)
	v_mul_f16_sdwa v81, v68, v54 dst_sel:DWORD dst_unused:UNUSED_PAD src0_sel:DWORD src1_sel:WORD_1
	v_mul_f16_sdwa v82, v42, v54 dst_sel:DWORD dst_unused:UNUSED_PAD src0_sel:DWORD src1_sel:WORD_1
	s_waitcnt vmcnt(11)
	v_mul_f16_sdwa v83, v69, v55 dst_sel:DWORD dst_unused:UNUSED_PAD src0_sel:DWORD src1_sel:WORD_1
	v_mul_f16_sdwa v84, v43, v55 dst_sel:DWORD dst_unused:UNUSED_PAD src0_sel:DWORD src1_sel:WORD_1
	;; [unrolled: 3-line block ×13, first 2 shown]
	v_fma_f16 v42, v42, v54, -v81
	v_fmac_f16_e32 v82, v68, v54
	v_fma_f16 v43, v43, v55, -v83
	v_fmac_f16_e32 v84, v69, v55
	;; [unrolled: 2-line block ×13, first 2 shown]
	v_pack_b32_f16 v42, v42, v82
	v_pack_b32_f16 v43, v43, v84
	;; [unrolled: 1-line block ×13, first 2 shown]
	ds_write2_b32 v25, v42, v43 offset1:11
	ds_write2_b32 v25, v44, v45 offset0:22 offset1:33
	ds_write2_b32 v25, v46, v47 offset0:44 offset1:55
	;; [unrolled: 1-line block ×5, first 2 shown]
	ds_write_b32 v25, v54 offset:528
.LBB0_9:
	s_or_b32 exec_lo, exec_lo, s8
	s_waitcnt lgkmcnt(0)
	s_barrier
	buffer_gl0_inv
	s_and_saveexec_b32 s4, vcc_lo
	s_cbranch_execz .LBB0_11
; %bb.10:
	ds_read2_b32 v[13:14], v25 offset1:11
	ds_read2_b32 v[17:18], v25 offset0:22 offset1:33
	ds_read2_b32 v[21:22], v25 offset0:44 offset1:55
	;; [unrolled: 1-line block ×5, first 2 shown]
	ds_read_b32 v28, v25 offset:528
	s_waitcnt lgkmcnt(6)
	v_lshrrev_b32_e32 v41, 16, v14
	s_waitcnt lgkmcnt(5)
	v_lshrrev_b32_e32 v40, 16, v17
	v_lshrrev_b32_e32 v39, 16, v18
	s_waitcnt lgkmcnt(4)
	v_lshrrev_b32_e32 v38, 16, v21
	;; [unrolled: 3-line block ×6, first 2 shown]
.LBB0_11:
	s_or_b32 exec_lo, exec_lo, s4
	s_barrier
	buffer_gl0_inv
	s_and_saveexec_b32 s4, vcc_lo
	s_cbranch_execz .LBB0_13
; %bb.12:
	v_add_f16_e32 v59, v29, v41
	v_sub_f16_e32 v46, v14, v28
	v_add_f16_e32 v60, v30, v40
	v_sub_f16_e32 v45, v17, v10
	v_add_f16_e32 v61, v32, v39
	v_mul_f16_e32 v62, 0xbbc4, v59
	v_sub_f16_e32 v43, v18, v9
	v_mul_f16_e32 v64, 0x3b15, v60
	v_add_f16_e32 v63, v33, v38
	v_mul_f16_e32 v66, 0xb9fd, v61
	v_fmamk_f16 v47, v46, 0x33a8, v62
	v_sub_f16_e32 v42, v21, v16
	v_fmamk_f16 v49, v45, 0xb770, v64
	v_add_f16_e32 v65, v34, v37
	v_sub_f16_e32 v67, v41, v29
	v_add_f16_sdwa v47, v47, v13 dst_sel:DWORD dst_unused:UNUSED_PAD src0_sel:DWORD src1_sel:WORD_1
	v_mul_f16_e32 v68, 0x388b, v63
	v_fmamk_f16 v50, v43, 0x394e, v66
	v_sub_f16_e32 v44, v22, v15
	v_add_f16_e32 v48, v28, v14
	v_add_f16_e32 v47, v49, v47
	v_sub_f16_e32 v69, v40, v30
	v_mul_f16_e32 v70, 0xb5ac, v65
	v_mul_f16_e32 v71, 0xb3a8, v67
	v_fmamk_f16 v49, v42, 0xba95, v68
	v_add_f16_e32 v47, v50, v47
	v_add_f16_e32 v50, v10, v17
	v_mul_f16_e32 v72, 0x3770, v69
	v_fmamk_f16 v51, v44, 0x3b7b, v70
	v_fmamk_f16 v52, v48, 0xbbc4, v71
	v_add_f16_e32 v47, v49, v47
	v_sub_f16_e32 v74, v39, v32
	v_add_f16_e32 v73, v35, v36
	v_fmamk_f16 v53, v50, 0x3b15, v72
	v_add_f16_e32 v52, v52, v13
	v_add_f16_e32 v47, v51, v47
	;; [unrolled: 1-line block ×3, first 2 shown]
	v_mul_f16_e32 v75, 0xb94e, v74
	v_sub_f16_e32 v77, v38, v33
	v_mul_f16_e32 v76, 0x2fb7, v73
	v_sub_f16_e32 v49, v19, v20
	v_add_f16_e32 v53, v53, v52
	v_fmamk_f16 v54, v51, 0xb9fd, v75
	v_add_f16_e32 v52, v16, v21
	v_mul_f16_e32 v78, 0x3a95, v77
	v_sub_f16_e32 v79, v37, v34
	v_fmamk_f16 v55, v49, 0xbbf1, v76
	v_add_f16_e32 v54, v54, v53
	v_add_f16_e32 v53, v15, v22
	v_fmamk_f16 v56, v52, 0x388b, v78
	v_mul_f16_e32 v81, 0xbb7b, v79
	v_sub_f16_e32 v82, v36, v35
	v_add_f16_e32 v47, v55, v47
	v_mul_f16_e32 v86, 0xb94e, v67
	v_add_f16_e32 v55, v56, v54
	v_fmamk_f16 v57, v53, 0xb5ac, v81
	v_add_f16_e32 v54, v20, v19
	v_mul_f16_e32 v84, 0x3bf1, v82
	v_mul_f16_e32 v88, 0x3bf1, v69
	;; [unrolled: 1-line block ×3, first 2 shown]
	v_add_f16_e32 v55, v57, v55
	v_mul_f16_e32 v93, 0x33a8, v77
	v_fmamk_f16 v57, v54, 0x2fb7, v84
	v_fmamk_f16 v90, v50, 0x2fb7, v88
	v_mul_f16_e32 v95, 0x3770, v79
	v_mul_f16_e32 v97, 0xbb7b, v82
	v_mul_f16_e32 v100, 0xbb7b, v67
	v_add_f16_e32 v55, v57, v55
	v_fmamk_f16 v57, v48, 0xb9fd, v86
	v_mul_f16_e32 v102, 0x394e, v69
	v_mul_f16_e32 v105, 0x3770, v74
	;; [unrolled: 1-line block ×4, first 2 shown]
	v_add_f16_e32 v57, v57, v13
	v_fmamk_f16 v104, v50, 0xb9fd, v102
	v_mul_f16_e32 v111, 0x3a95, v82
	v_mul_f16_e32 v114, 0xbbf1, v67
	;; [unrolled: 1-line block ×3, first 2 shown]
	v_add_f16_e32 v57, v90, v57
	v_fmamk_f16 v90, v51, 0x388b, v91
	v_mul_f16_e32 v119, 0x3b7b, v74
	v_mul_f16_e32 v121, 0x3770, v77
	v_fmamk_f16 v118, v50, 0xbbc4, v116
	v_mul_f16_e32 v123, 0xba95, v79
	v_add_f16_e32 v57, v90, v57
	v_fmamk_f16 v90, v52, 0xbbc4, v93
	v_mul_f16_e32 v125, 0xb94e, v82
	v_mul_f16_e32 v128, 0xba95, v67
	v_mul_f16_e32 v130, 0xbb7b, v69
	v_mul_f16_e32 v133, 0xb3a8, v74
	v_add_f16_e32 v57, v90, v57
	v_fmamk_f16 v90, v53, 0x3b15, v95
	v_mul_f16_e32 v135, 0x394e, v77
	v_fmamk_f16 v132, v50, 0xb5ac, v130
	v_mul_f16_e32 v80, 0xb9fd, v59
	v_mul_f16_e32 v136, 0x3bf1, v79
	v_add_f16_e32 v57, v90, v57
	v_fmamk_f16 v90, v54, 0xb5ac, v97
	v_mul_f16_e32 v83, 0x2fb7, v60
	v_fmamk_f16 v56, v46, 0x394e, v80
	v_mul_f16_e32 v137, 0x3770, v82
	v_mul_f16_e32 v85, 0x388b, v61
	v_add_f16_e32 v57, v90, v57
	v_fmamk_f16 v90, v48, 0xb5ac, v100
	v_add_f16_sdwa v56, v56, v13 dst_sel:DWORD dst_unused:UNUSED_PAD src0_sel:DWORD src1_sel:WORD_1
	v_fmamk_f16 v58, v45, 0xbbf1, v83
	v_mul_f16_e32 v67, 0xb770, v67
	v_mul_f16_e32 v87, 0xbbc4, v63
	v_add_f16_e32 v90, v90, v13
	v_mul_f16_e32 v69, 0xba95, v69
	v_add_f16_e32 v56, v58, v56
	v_fmamk_f16 v58, v43, 0x3a95, v85
	v_mul_f16_e32 v89, 0x3b15, v65
	v_add_f16_e32 v90, v104, v90
	v_fmamk_f16 v104, v51, 0x3b15, v105
	v_fmamk_f16 v139, v50, 0x388b, v69
	v_add_f16_e32 v56, v58, v56
	v_fmamk_f16 v58, v42, 0xb3a8, v87
	v_mul_f16_e32 v74, 0xbbf1, v74
	v_add_f16_e32 v90, v104, v90
	v_fmamk_f16 v104, v52, 0x2fb7, v107
	v_mul_f16_e32 v92, 0xb5ac, v73
	;; [unrolled: 3-line block ×3, first 2 shown]
	v_add_f16_e32 v90, v104, v90
	v_fmamk_f16 v104, v53, 0xbbc4, v109
	v_fmac_f16_e32 v62, 0xb3a8, v46
	v_add_f16_e32 v56, v58, v56
	v_fmamk_f16 v58, v49, 0x3b7b, v92
	v_mul_f16_e32 v94, 0xb5ac, v59
	v_add_f16_e32 v90, v104, v90
	v_fmamk_f16 v104, v54, 0x388b, v111
	v_add_f16_sdwa v62, v62, v13 dst_sel:DWORD dst_unused:UNUSED_PAD src0_sel:DWORD src1_sel:WORD_1
	v_fmac_f16_e32 v64, 0x3770, v45
	v_mul_f16_e32 v79, 0xb94e, v79
	v_fma_f16 v71, v48, 0xbbc4, -v71
	v_add_f16_e32 v90, v104, v90
	v_fmamk_f16 v104, v48, 0x2fb7, v114
	v_add_f16_e32 v56, v58, v56
	v_fmamk_f16 v58, v46, 0x3b7b, v94
	v_mul_f16_e32 v96, 0xb9fd, v60
	v_add_f16_e32 v62, v64, v62
	v_add_f16_e32 v104, v104, v13
	v_fmac_f16_e32 v66, 0xb94e, v43
	v_fmamk_f16 v64, v53, 0xb9fd, v79
	v_mul_f16_e32 v82, 0xb3a8, v82
	v_add_f16_e32 v71, v71, v13
	v_add_f16_e32 v104, v118, v104
	v_fmamk_f16 v118, v51, 0xb5ac, v119
	v_fma_f16 v72, v50, 0x3b15, -v72
	v_add_f16_sdwa v58, v58, v13 dst_sel:DWORD dst_unused:UNUSED_PAD src0_sel:DWORD src1_sel:WORD_1
	v_fmamk_f16 v98, v45, 0xb94e, v96
	v_mul_f16_e32 v99, 0x3b15, v61
	v_add_f16_e32 v104, v118, v104
	v_fmamk_f16 v118, v52, 0x3b15, v121
	v_add_f16_e32 v62, v66, v62
	v_fmac_f16_e32 v68, 0x3a95, v42
	v_fmamk_f16 v66, v54, 0xbbc4, v82
	v_add_f16_e32 v71, v72, v71
	v_add_f16_e32 v104, v118, v104
	v_fmamk_f16 v118, v53, 0x388b, v123
	v_fma_f16 v72, v51, 0xb9fd, -v75
	v_add_f16_e32 v58, v98, v58
	v_fmamk_f16 v98, v43, 0xb770, v99
	v_mul_f16_e32 v101, 0x2fb7, v63
	v_add_f16_e32 v104, v118, v104
	v_fmamk_f16 v118, v54, 0xb9fd, v125
	v_add_f16_e32 v62, v68, v62
	v_fma_f16 v68, v52, 0x388b, -v78
	v_add_f16_e32 v58, v98, v58
	v_fmamk_f16 v98, v42, 0x3bf1, v101
	v_add_f16_e32 v104, v118, v104
	v_fmamk_f16 v118, v48, 0x388b, v128
	v_mul_f16_e32 v103, 0xbbc4, v65
	v_mul_f16_e32 v106, 0x388b, v73
	v_add_f16_e32 v58, v98, v58
	v_mul_f16_e32 v108, 0x2fb7, v59
	v_add_f16_e32 v118, v118, v13
	v_fmamk_f16 v98, v44, 0xb3a8, v103
	v_fmac_f16_e32 v94, 0xbb7b, v46
	v_mul_f16_e32 v110, 0xbbc4, v60
	v_fmac_f16_e32 v70, 0xbb7b, v44
	v_add_f16_e32 v118, v132, v118
	v_fmamk_f16 v132, v51, 0xbbc4, v133
	v_add_f16_e32 v58, v98, v58
	v_fmamk_f16 v98, v49, 0xba95, v106
	v_add_f16_sdwa v75, v94, v13 dst_sel:DWORD dst_unused:UNUSED_PAD src0_sel:DWORD src1_sel:WORD_1
	v_fmac_f16_e32 v96, 0x394e, v45
	v_add_f16_e32 v118, v132, v118
	v_fmamk_f16 v132, v52, 0xb9fd, v135
	v_add_f16_e32 v58, v98, v58
	v_fmamk_f16 v98, v46, 0x3bf1, v108
	v_fmamk_f16 v112, v45, 0x33a8, v110
	v_mul_f16_e32 v113, 0xb5ac, v61
	v_add_f16_e32 v118, v132, v118
	v_fmamk_f16 v132, v53, 0x2fb7, v136
	v_add_f16_sdwa v98, v98, v13 dst_sel:DWORD dst_unused:UNUSED_PAD src0_sel:DWORD src1_sel:WORD_1
	v_add_f16_e32 v62, v70, v62
	v_fmac_f16_e32 v76, 0x3bf1, v49
	v_mul_f16_e32 v115, 0x3b15, v63
	v_add_f16_e32 v118, v132, v118
	v_fmamk_f16 v132, v54, 0x3b15, v137
	v_add_f16_e32 v98, v112, v98
	v_fmamk_f16 v112, v43, 0xbb7b, v113
	v_add_f16_e32 v62, v76, v62
	v_fma_f16 v76, v50, 0xb9fd, -v102
	v_add_f16_e32 v118, v132, v118
	v_fmamk_f16 v132, v48, 0x3b15, v67
	v_add_f16_e32 v98, v112, v98
	v_fmamk_f16 v112, v42, 0xb770, v115
	v_mul_f16_e32 v117, 0x388b, v65
	v_fmac_f16_e32 v80, 0xb94e, v46
	v_add_f16_e32 v132, v132, v13
	v_fmac_f16_e32 v108, 0xbbf1, v46
	v_add_f16_e32 v98, v112, v98
	v_fmamk_f16 v112, v44, 0x3a95, v117
	v_mul_f16_e32 v120, 0xb9fd, v73
	v_add_f16_e32 v132, v139, v132
	v_fmamk_f16 v139, v51, 0x2fb7, v74
	v_add_f16_sdwa v70, v80, v13 dst_sel:DWORD dst_unused:UNUSED_PAD src0_sel:DWORD src1_sel:WORD_1
	v_add_f16_sdwa v78, v108, v13 dst_sel:DWORD dst_unused:UNUSED_PAD src0_sel:DWORD src1_sel:WORD_1
	v_fmac_f16_e32 v110, 0xb3a8, v45
	v_fma_f16 v80, v50, 0xbbc4, -v116
	v_add_f16_e32 v132, v139, v132
	v_fmamk_f16 v139, v52, 0xb5ac, v77
	v_add_f16_e32 v98, v112, v98
	v_fmamk_f16 v112, v49, 0x394e, v120
	v_mul_f16_e32 v122, 0x388b, v59
	v_add_f16_e32 v78, v110, v78
	v_add_f16_e32 v132, v139, v132
	v_fmac_f16_e32 v113, 0x3b7b, v43
	v_add_f16_e32 v98, v112, v98
	v_fmamk_f16 v112, v46, 0x3a95, v122
	v_mul_f16_e32 v124, 0xb5ac, v60
	v_add_f16_e32 v64, v64, v132
	v_fmac_f16_e32 v122, 0xba95, v46
	v_mul_f16_e32 v127, 0xbbc4, v61
	v_add_f16_sdwa v112, v112, v13 dst_sel:DWORD dst_unused:UNUSED_PAD src0_sel:DWORD src1_sel:WORD_1
	v_fmamk_f16 v126, v45, 0x3b7b, v124
	v_add_f16_e32 v64, v66, v64
	v_add_f16_e32 v66, v72, v71
	v_fma_f16 v71, v48, 0xb9fd, -v86
	v_fma_f16 v72, v54, 0x2fb7, -v84
	v_fmac_f16_e32 v124, 0xbb7b, v45
	v_add_f16_e32 v112, v126, v112
	v_add_f16_e32 v66, v68, v66
	v_fma_f16 v68, v53, 0xb5ac, -v81
	v_add_f16_sdwa v81, v122, v13 dst_sel:DWORD dst_unused:UNUSED_PAD src0_sel:DWORD src1_sel:WORD_1
	v_fmamk_f16 v126, v43, 0x33a8, v127
	v_fmac_f16_e32 v127, 0xb3a8, v43
	v_add_f16_sdwa v41, v41, v13 dst_sel:DWORD dst_unused:UNUSED_PAD src0_sel:DWORD src1_sel:WORD_1
	v_add_f16_e32 v66, v68, v66
	v_add_f16_e32 v68, v71, v13
	v_fma_f16 v71, v50, 0x2fb7, -v88
	v_add_f16_e32 v81, v124, v81
	v_add_f16_e32 v14, v14, v13
	;; [unrolled: 1-line block ×5, first 2 shown]
	v_fma_f16 v71, v51, 0x388b, -v91
	v_fma_f16 v75, v48, 0xb5ac, -v100
	v_add_f16_e32 v40, v40, v41
	v_add_f16_e32 v14, v17, v14
	v_mul_f16_e32 v129, 0xb9fd, v63
	v_add_f16_e32 v68, v71, v68
	v_fma_f16 v71, v52, 0xbbc4, -v93
	v_add_f16_e32 v75, v75, v13
	v_fma_f16 v41, v51, 0xbbc4, -v133
	v_add_f16_e32 v39, v39, v40
	v_add_f16_e32 v14, v18, v14
	;; [unrolled: 1-line block ×3, first 2 shown]
	v_fma_f16 v71, v53, 0x3b15, -v95
	v_add_f16_e32 v112, v126, v112
	v_fmamk_f16 v126, v42, 0xb94e, v129
	v_mul_f16_e32 v131, 0x2fb7, v65
	v_fma_f16 v18, v52, 0xb9fd, -v135
	v_add_f16_e32 v68, v71, v68
	v_fma_f16 v71, v54, 0xb5ac, -v97
	v_add_f16_e32 v38, v38, v39
	v_add_f16_e32 v14, v21, v14
	;; [unrolled: 1-line block ×3, first 2 shown]
	v_fmamk_f16 v126, v44, 0xbbf1, v131
	v_add_f16_e32 v68, v71, v68
	v_add_f16_e32 v71, v76, v75
	v_fma_f16 v75, v51, 0x3b15, -v105
	v_fma_f16 v76, v48, 0x2fb7, -v114
	v_mul_f16_e32 v134, 0x3b15, v73
	v_add_f16_e32 v14, v22, v14
	v_add_f16_e32 v112, v126, v112
	;; [unrolled: 1-line block ×3, first 2 shown]
	v_fma_f16 v75, v52, 0x2fb7, -v107
	v_add_f16_e32 v76, v76, v13
	v_fmamk_f16 v126, v49, 0xb770, v134
	v_mul_f16_e32 v59, 0x3b15, v59
	v_add_f16_e32 v14, v19, v14
	v_add_f16_e32 v71, v75, v71
	v_fma_f16 v75, v53, 0xbbc4, -v109
	v_add_f16_e32 v76, v80, v76
	v_fma_f16 v80, v51, 0xb5ac, -v119
	v_add_f16_e32 v112, v126, v112
	v_fmamk_f16 v126, v46, 0x3770, v59
	v_add_f16_e32 v71, v75, v71
	v_add_f16_e32 v75, v113, v78
	;; [unrolled: 1-line block ×3, first 2 shown]
	v_fma_f16 v78, v52, 0x3b15, -v121
	v_fma_f16 v80, v54, 0x388b, -v111
	v_mul_f16_e32 v60, 0x388b, v60
	v_fmac_f16_e32 v59, 0xb770, v46
	v_add_f16_e32 v14, v20, v14
	v_add_f16_e32 v76, v78, v76
	v_fma_f16 v78, v53, 0x388b, -v123
	v_add_f16_e32 v71, v80, v71
	v_fma_f16 v80, v48, 0x388b, -v128
	v_add_f16_sdwa v126, v126, v13 dst_sel:DWORD dst_unused:UNUSED_PAD src0_sel:DWORD src1_sel:WORD_1
	v_fmamk_f16 v138, v45, 0x3a95, v60
	v_add_f16_e32 v76, v78, v76
	v_fma_f16 v78, v54, 0xb9fd, -v125
	v_add_f16_e32 v80, v80, v13
	v_mul_f16_e32 v61, 0x2fb7, v61
	v_fma_f16 v19, v48, 0x3b15, -v67
	v_fma_f16 v22, v53, 0x2fb7, -v136
	v_add_f16_e32 v76, v78, v76
	v_add_f16_e32 v78, v127, v81
	v_fma_f16 v81, v50, 0xb5ac, -v130
	v_fmac_f16_e32 v60, 0xba95, v45
	v_add_f16_e32 v14, v15, v14
	v_add_f16_e32 v126, v138, v126
	v_fmamk_f16 v138, v43, 0x3bf1, v61
	v_add_f16_e32 v17, v81, v80
	v_mul_f16_e32 v63, 0xb5ac, v63
	v_fmac_f16_e32 v83, 0x3bf1, v45
	v_fmac_f16_e32 v61, 0xbbf1, v43
	v_add_f16_e32 v14, v16, v14
	v_add_f16_e32 v17, v41, v17
	;; [unrolled: 1-line block ×3, first 2 shown]
	v_fmamk_f16 v138, v42, 0x3b7b, v63
	v_mul_f16_e32 v65, 0xb9fd, v65
	v_add_f16_e32 v70, v83, v70
	v_add_f16_e32 v17, v18, v17
	;; [unrolled: 1-line block ×3, first 2 shown]
	v_add_f16_sdwa v37, v59, v13 dst_sel:DWORD dst_unused:UNUSED_PAD src0_sel:DWORD src1_sel:WORD_1
	v_add_f16_e32 v13, v19, v13
	v_fma_f16 v19, v50, 0x388b, -v69
	v_add_f16_e32 v17, v22, v17
	v_add_f16_e32 v18, v36, v18
	;; [unrolled: 1-line block ×3, first 2 shown]
	v_fmac_f16_e32 v85, 0xba95, v43
	v_fmac_f16_e32 v99, 0x3770, v43
	v_add_f16_e32 v13, v19, v13
	v_add_f16_e32 v18, v35, v18
	v_fma_f16 v16, v51, 0x2fb7, -v74
	v_add_f16_e32 v15, v61, v22
	v_fmac_f16_e32 v63, 0xbb7b, v42
	v_add_f16_e32 v9, v9, v14
	v_add_f16_e32 v18, v34, v18
	;; [unrolled: 1-line block ×3, first 2 shown]
	v_fmamk_f16 v138, v44, 0x394e, v65
	v_mul_f16_e32 v73, 0xbbc4, v73
	v_add_f16_e32 v70, v85, v70
	v_add_f16_e32 v18, v33, v18
	v_fmac_f16_e32 v87, 0x33a8, v42
	v_add_f16_e32 v72, v99, v72
	v_fmac_f16_e32 v101, 0xbbf1, v42
	v_fmac_f16_e32 v115, 0x3770, v42
	v_add_f16_e32 v18, v32, v18
	v_fmac_f16_e32 v129, 0x394e, v42
	v_add_f16_e32 v13, v16, v13
	v_fma_f16 v14, v52, 0xb5ac, -v77
	v_add_f16_e32 v15, v63, v15
	v_fmac_f16_e32 v65, 0xb94e, v44
	v_add_f16_e32 v18, v30, v18
	v_add_f16_e32 v9, v10, v9
	;; [unrolled: 1-line block ×3, first 2 shown]
	v_fmamk_f16 v138, v49, 0x33a8, v73
	v_add_f16_e32 v70, v87, v70
	v_fmac_f16_e32 v89, 0x3770, v44
	v_add_f16_e32 v72, v101, v72
	v_fmac_f16_e32 v103, 0x33a8, v44
	;; [unrolled: 2-line block ×4, first 2 shown]
	v_add_f16_e32 v13, v14, v13
	v_fma_f16 v14, v53, 0xb9fd, -v79
	v_add_f16_e32 v10, v65, v15
	v_add_f16_sdwa v15, v29, v18 dst_sel:WORD_1 dst_unused:UNUSED_PAD src0_sel:DWORD src1_sel:DWORD
	v_add_f16_e32 v9, v28, v9
	v_and_b32_e32 v18, 0xffff, v27
	v_add_f16_e32 v126, v138, v126
	v_add_f16_e32 v70, v89, v70
	v_fmac_f16_e32 v92, 0xbb7b, v49
	v_add_f16_e32 v72, v103, v72
	v_fmac_f16_e32 v106, 0x3a95, v49
	;; [unrolled: 2-line block ×4, first 2 shown]
	v_fma_f16 v16, v54, 0x3b15, -v137
	v_fmac_f16_e32 v73, 0xb3a8, v49
	v_add_f16_e32 v13, v14, v13
	v_fma_f16 v14, v54, 0xbbc4, -v82
	v_or_b32_sdwa v9, v15, v9 dst_sel:DWORD dst_unused:UNUSED_PAD src0_sel:DWORD src1_sel:WORD_0
	v_lshl_add_u32 v15, v18, 2, v26
	v_pack_b32_f16 v18, v118, v112
	v_pack_b32_f16 v19, v64, v126
	v_add_f16_e32 v70, v92, v70
	v_add_f16_e32 v72, v106, v72
	;; [unrolled: 1-line block ×7, first 2 shown]
	ds_write_b32 v15, v9
	ds_write2_b32 v15, v19, v18 offset0:1 offset1:2
	v_pack_b32_f16 v9, v90, v58
	v_pack_b32_f16 v14, v104, v98
	;; [unrolled: 1-line block ×10, first 2 shown]
	ds_write2_b32 v15, v14, v9 offset0:3 offset1:4
	ds_write2_b32 v15, v18, v17 offset0:5 offset1:6
	;; [unrolled: 1-line block ×5, first 2 shown]
.LBB0_13:
	s_or_b32 exec_lo, exec_lo, s4
	s_waitcnt lgkmcnt(0)
	s_barrier
	buffer_gl0_inv
	ds_read2_b32 v[9:10], v31 offset1:13
	ds_read2_b32 v[13:14], v31 offset0:26 offset1:39
	ds_read2_b32 v[15:16], v31 offset0:52 offset1:65
	;; [unrolled: 1-line block ×4, first 2 shown]
	ds_read_b32 v21, v31 offset:520
	s_waitcnt lgkmcnt(5)
	v_lshrrev_b32_e32 v22, 16, v10
	s_waitcnt lgkmcnt(4)
	v_lshrrev_b32_e32 v26, 16, v13
	v_lshrrev_b32_e32 v27, 16, v14
	s_waitcnt lgkmcnt(3)
	v_lshrrev_b32_e32 v28, 16, v15
	v_mul_f16_sdwa v35, v4, v10 dst_sel:DWORD dst_unused:UNUSED_PAD src0_sel:WORD_1 src1_sel:DWORD
	v_mul_f16_sdwa v36, v5, v13 dst_sel:DWORD dst_unused:UNUSED_PAD src0_sel:WORD_1 src1_sel:DWORD
	;; [unrolled: 1-line block ×3, first 2 shown]
	v_lshrrev_b32_e32 v29, 16, v16
	v_mul_f16_sdwa v37, v6, v14 dst_sel:DWORD dst_unused:UNUSED_PAD src0_sel:WORD_1 src1_sel:DWORD
	v_mul_f16_sdwa v38, v7, v15 dst_sel:DWORD dst_unused:UNUSED_PAD src0_sel:WORD_1 src1_sel:DWORD
	v_fma_f16 v22, v4, v22, -v35
	v_mul_f16_sdwa v35, v5, v26 dst_sel:DWORD dst_unused:UNUSED_PAD src0_sel:WORD_1 src1_sel:DWORD
	v_mul_f16_sdwa v40, v6, v27 dst_sel:DWORD dst_unused:UNUSED_PAD src0_sel:WORD_1 src1_sel:DWORD
	v_fma_f16 v26, v5, v26, -v36
	v_mul_f16_sdwa v36, v7, v28 dst_sel:DWORD dst_unused:UNUSED_PAD src0_sel:WORD_1 src1_sel:DWORD
	v_fmac_f16_e32 v39, v4, v10
	v_fmac_f16_e32 v35, v5, v13
	;; [unrolled: 1-line block ×3, first 2 shown]
	v_fma_f16 v4, v6, v27, -v37
	v_fmac_f16_e32 v36, v7, v15
	v_mul_f16_sdwa v5, v0, v29 dst_sel:DWORD dst_unused:UNUSED_PAD src0_sel:WORD_1 src1_sel:DWORD
	v_fma_f16 v6, v7, v28, -v38
	v_add_f16_e32 v7, v39, v9
	v_mul_f16_sdwa v10, v0, v16 dst_sel:DWORD dst_unused:UNUSED_PAD src0_sel:WORD_1 src1_sel:DWORD
	v_add_f16_sdwa v13, v22, v9 dst_sel:DWORD dst_unused:UNUSED_PAD src0_sel:DWORD src1_sel:WORD_1
	s_waitcnt lgkmcnt(2)
	v_lshrrev_b32_e32 v30, 16, v17
	v_fmac_f16_e32 v5, v0, v16
	v_add_f16_e32 v7, v7, v35
	v_fma_f16 v0, v0, v29, -v10
	v_add_f16_e32 v10, v13, v26
	v_lshrrev_b32_e32 v31, 16, v18
	v_mul_f16_sdwa v14, v1, v30 dst_sel:DWORD dst_unused:UNUSED_PAD src0_sel:WORD_1 src1_sel:DWORD
	v_mul_f16_sdwa v13, v1, v17 dst_sel:DWORD dst_unused:UNUSED_PAD src0_sel:WORD_1 src1_sel:DWORD
	v_add_f16_e32 v7, v7, v40
	v_add_f16_e32 v10, v10, v4
	s_waitcnt lgkmcnt(1)
	v_lshrrev_b32_e32 v32, 16, v19
	v_fmac_f16_e32 v14, v1, v17
	v_mul_f16_sdwa v15, v2, v31 dst_sel:DWORD dst_unused:UNUSED_PAD src0_sel:WORD_1 src1_sel:DWORD
	v_fma_f16 v1, v1, v30, -v13
	v_mul_f16_sdwa v13, v2, v18 dst_sel:DWORD dst_unused:UNUSED_PAD src0_sel:WORD_1 src1_sel:DWORD
	v_add_f16_e32 v7, v7, v36
	v_add_f16_e32 v10, v10, v6
	v_lshrrev_b32_e32 v33, 16, v20
	v_fmac_f16_e32 v15, v2, v18
	v_mul_f16_sdwa v16, v3, v32 dst_sel:DWORD dst_unused:UNUSED_PAD src0_sel:WORD_1 src1_sel:DWORD
	v_fma_f16 v2, v2, v31, -v13
	v_add_f16_e32 v7, v7, v5
	v_mul_f16_sdwa v13, v3, v19 dst_sel:DWORD dst_unused:UNUSED_PAD src0_sel:WORD_1 src1_sel:DWORD
	v_add_f16_e32 v10, v10, v0
	s_waitcnt lgkmcnt(0)
	v_lshrrev_b32_e32 v34, 16, v21
	v_fmac_f16_e32 v16, v3, v19
	v_mul_f16_sdwa v17, v11, v33 dst_sel:DWORD dst_unused:UNUSED_PAD src0_sel:WORD_1 src1_sel:DWORD
	v_add_f16_e32 v7, v7, v14
	v_fma_f16 v3, v3, v32, -v13
	v_add_f16_e32 v10, v10, v1
	v_mul_f16_sdwa v13, v11, v20 dst_sel:DWORD dst_unused:UNUSED_PAD src0_sel:WORD_1 src1_sel:DWORD
	v_mul_f16_sdwa v18, v12, v21 dst_sel:DWORD dst_unused:UNUSED_PAD src0_sel:WORD_1 src1_sel:DWORD
	v_fmac_f16_e32 v17, v11, v20
	v_add_f16_e32 v7, v7, v15
	v_add_f16_e32 v10, v10, v2
	v_fma_f16 v11, v11, v33, -v13
	v_mul_f16_sdwa v13, v12, v34 dst_sel:DWORD dst_unused:UNUSED_PAD src0_sel:WORD_1 src1_sel:DWORD
	v_fma_f16 v18, v12, v34, -v18
	v_add_f16_e32 v7, v7, v16
	v_add_f16_e32 v10, v10, v3
	v_sub_f16_e32 v43, v26, v11
	v_fmac_f16_e32 v13, v12, v21
	v_sub_f16_e32 v12, v22, v18
	v_add_f16_e32 v7, v7, v17
	v_add_f16_e32 v10, v10, v11
	;; [unrolled: 1-line block ×4, first 2 shown]
	v_mul_f16_e32 v21, 0xb853, v12
	v_add_f16_e32 v7, v7, v13
	v_add_f16_sdwa v10, v10, v18 dst_sel:WORD_1 dst_unused:UNUSED_PAD src0_sel:DWORD src1_sel:DWORD
	v_sub_f16_e32 v13, v39, v13
	v_mul_f16_e32 v18, 0x3abb, v19
	v_fmamk_f16 v22, v20, 0x3abb, v21
	v_mul_f16_e32 v27, 0xbb47, v12
	v_mul_f16_e32 v29, 0x36a6, v19
	;; [unrolled: 1-line block ×8, first 2 shown]
	v_add_f16_e32 v45, v35, v17
	v_mul_f16_e32 v46, 0xbb47, v43
	v_add_f16_e32 v11, v26, v11
	v_or_b32_sdwa v7, v10, v7 dst_sel:DWORD dst_unused:UNUSED_PAD src0_sel:DWORD src1_sel:WORD_0
	v_fmamk_f16 v10, v13, 0x3853, v18
	v_add_f16_e32 v22, v22, v9
	v_fma_f16 v21, v20, 0x3abb, -v21
	v_fmac_f16_e32 v18, 0xb853, v13
	v_fmamk_f16 v28, v20, 0x36a6, v27
	v_fmamk_f16 v31, v13, 0x3b47, v29
	v_fma_f16 v27, v20, 0x36a6, -v27
	v_fmac_f16_e32 v29, 0xbb47, v13
	v_fmamk_f16 v32, v20, 0xb08e, v30
	v_fmamk_f16 v34, v13, 0x3beb, v33
	;; [unrolled: 4-line block ×4, first 2 shown]
	v_fma_f16 v12, v20, 0xbbad, -v12
	v_fmac_f16_e32 v19, 0xb482, v13
	v_sub_f16_e32 v13, v35, v17
	v_fmamk_f16 v17, v45, 0x36a6, v46
	v_mul_f16_e32 v20, 0x36a6, v11
	v_add_f16_sdwa v10, v10, v9 dst_sel:DWORD dst_unused:UNUSED_PAD src0_sel:DWORD src1_sel:WORD_1
	v_add_f16_e32 v21, v21, v9
	v_add_f16_sdwa v18, v18, v9 dst_sel:DWORD dst_unused:UNUSED_PAD src0_sel:DWORD src1_sel:WORD_1
	v_add_f16_e32 v28, v28, v9
	;; [unrolled: 2-line block ×10, first 2 shown]
	v_fmamk_f16 v19, v13, 0x3b47, v20
	v_mul_f16_e32 v22, 0xba0c, v43
	v_fma_f16 v35, v45, 0x36a6, -v46
	v_fmac_f16_e32 v20, 0xbb47, v13
	v_mul_f16_e32 v44, 0xb93d, v11
	v_add_f16_e32 v10, v19, v10
	v_fmamk_f16 v19, v45, 0xb93d, v22
	v_add_f16_e32 v21, v35, v21
	v_add_f16_e32 v18, v20, v18
	v_fmamk_f16 v20, v13, 0x3a0c, v44
	v_mul_f16_e32 v35, 0x3482, v43
	v_add_f16_e32 v19, v19, v28
	v_fma_f16 v22, v45, 0xb93d, -v22
	v_fmac_f16_e32 v44, 0xba0c, v13
	v_add_f16_e32 v20, v20, v31
	v_fmamk_f16 v28, v45, 0xbbad, v35
	v_mul_f16_e32 v31, 0xbbad, v11
	v_add_f16_e32 v22, v22, v27
	v_add_f16_e32 v27, v44, v29
	v_mul_f16_e32 v29, 0x3beb, v43
	v_add_f16_e32 v28, v28, v32
	v_fmamk_f16 v32, v13, 0xb482, v31
	v_mul_f16_e32 v46, 0xb08e, v11
	v_mul_f16_e32 v11, 0x3abb, v11
	v_fmamk_f16 v44, v45, 0xb08e, v29
	v_fma_f16 v29, v45, 0xb08e, -v29
	v_add_f16_e32 v32, v32, v34
	v_fmamk_f16 v34, v13, 0xbbeb, v46
	v_fmac_f16_e32 v46, 0x3beb, v13
	v_fma_f16 v35, v45, 0xbbad, -v35
	v_add_f16_e32 v29, v29, v37
	v_fmac_f16_e32 v31, 0x3482, v13
	v_add_f16_e32 v34, v34, v41
	v_fmamk_f16 v41, v13, 0xb853, v11
	v_add_f16_e32 v37, v46, v38
	v_sub_f16_e32 v38, v4, v3
	v_add_f16_e32 v30, v35, v30
	v_mul_f16_e32 v35, 0x3853, v43
	v_add_f16_e32 v26, v41, v26
	v_add_f16_e32 v41, v40, v16
	;; [unrolled: 1-line block ×3, first 2 shown]
	v_mul_f16_e32 v4, 0xbbeb, v38
	v_fmac_f16_e32 v11, 0x3853, v13
	v_add_f16_e32 v31, v31, v33
	v_add_f16_e32 v33, v44, v39
	v_fmamk_f16 v39, v45, 0x3abb, v35
	v_fma_f16 v35, v45, 0x3abb, -v35
	v_sub_f16_e32 v13, v40, v16
	v_mul_f16_e32 v16, 0xb08e, v3
	v_fmamk_f16 v40, v41, 0xb08e, v4
	v_add_f16_e32 v9, v11, v9
	v_mul_f16_e32 v11, 0x3482, v38
	v_add_f16_e32 v12, v35, v12
	v_fmamk_f16 v35, v13, 0x3beb, v16
	v_add_f16_e32 v17, v40, v17
	v_fmac_f16_e32 v16, 0xbbeb, v13
	v_fmamk_f16 v40, v41, 0xbbad, v11
	v_fma_f16 v4, v41, 0xb08e, -v4
	v_add_f16_e32 v10, v35, v10
	v_mul_f16_e32 v35, 0xbbad, v3
	v_add_f16_e32 v16, v16, v18
	v_add_f16_e32 v18, v40, v19
	v_mul_f16_e32 v19, 0x3b47, v38
	v_add_f16_e32 v39, v39, v42
	v_add_f16_e32 v4, v4, v21
	v_fmamk_f16 v21, v13, 0xb482, v35
	v_fma_f16 v11, v41, 0xbbad, -v11
	v_fmac_f16_e32 v35, 0x3482, v13
	v_mul_f16_e32 v40, 0x36a6, v3
	v_fmamk_f16 v42, v41, 0x36a6, v19
	v_add_f16_e32 v20, v21, v20
	v_add_f16_e32 v11, v11, v22
	;; [unrolled: 1-line block ×3, first 2 shown]
	v_fmamk_f16 v22, v13, 0xbb47, v40
	v_add_f16_e32 v27, v42, v28
	v_mul_f16_e32 v28, 0xb853, v38
	v_fma_f16 v19, v41, 0x36a6, -v19
	v_fmac_f16_e32 v40, 0x3b47, v13
	v_add_f16_e32 v22, v22, v32
	v_mul_f16_e32 v32, 0x3abb, v3
	v_fmamk_f16 v35, v41, 0x3abb, v28
	v_add_f16_e32 v19, v19, v30
	v_add_f16_e32 v30, v40, v31
	v_mul_f16_e32 v31, 0xba0c, v38
	v_fmamk_f16 v38, v13, 0x3853, v32
	v_add_f16_e32 v33, v35, v33
	v_fma_f16 v28, v41, 0x3abb, -v28
	v_fmac_f16_e32 v32, 0xb853, v13
	v_fmamk_f16 v35, v41, 0xb93d, v31
	v_mul_f16_e32 v3, 0xb93d, v3
	v_add_f16_e32 v34, v38, v34
	v_add_f16_e32 v28, v28, v29
	;; [unrolled: 1-line block ×4, first 2 shown]
	v_sub_f16_e32 v35, v6, v2
	v_add_f16_e32 v2, v6, v2
	v_fmamk_f16 v37, v13, 0x3a0c, v3
	v_fma_f16 v31, v41, 0xb93d, -v31
	v_add_f16_e32 v6, v36, v15
	v_mul_f16_e32 v38, 0xba0c, v35
	v_fmac_f16_e32 v3, 0xba0c, v13
	v_sub_f16_e32 v13, v36, v15
	v_mul_f16_e32 v15, 0xb93d, v2
	v_add_f16_e32 v12, v31, v12
	v_fmamk_f16 v36, v6, 0xb93d, v38
	v_add_f16_e32 v3, v3, v9
	v_mul_f16_e32 v31, 0x3beb, v35
	v_fmamk_f16 v9, v13, 0x3a0c, v15
	v_fmac_f16_e32 v15, 0xba0c, v13
	v_add_f16_e32 v26, v37, v26
	v_add_f16_e32 v17, v36, v17
	v_fma_f16 v36, v6, 0xb93d, -v38
	v_add_f16_e32 v9, v9, v10
	v_fmamk_f16 v10, v6, 0xb08e, v31
	v_mul_f16_e32 v37, 0xb08e, v2
	v_add_f16_e32 v15, v15, v16
	v_mul_f16_e32 v16, 0xb853, v35
	v_add_f16_e32 v4, v36, v4
	v_add_f16_e32 v10, v10, v18
	v_fmamk_f16 v18, v13, 0xbbeb, v37
	v_fma_f16 v31, v6, 0xb08e, -v31
	v_fmac_f16_e32 v37, 0x3beb, v13
	v_fmamk_f16 v36, v6, 0x3abb, v16
	v_mul_f16_e32 v38, 0x3abb, v2
	v_add_f16_e32 v18, v18, v20
	v_add_f16_e32 v11, v31, v11
	;; [unrolled: 1-line block ×4, first 2 shown]
	v_fmamk_f16 v27, v13, 0x3853, v38
	v_mul_f16_e32 v31, 0xb482, v35
	v_fma_f16 v16, v6, 0x3abb, -v16
	v_mul_f16_e32 v36, 0xbbad, v2
	v_mul_f16_e32 v35, 0x3b47, v35
	v_add_f16_e32 v22, v27, v22
	v_fmamk_f16 v27, v6, 0xbbad, v31
	v_fma_f16 v31, v6, 0xbbad, -v31
	v_add_f16_e32 v16, v16, v19
	v_fmamk_f16 v19, v13, 0x3482, v36
	v_fmac_f16_e32 v36, 0xb482, v13
	v_add_f16_e32 v27, v27, v33
	v_add_f16_e32 v28, v31, v28
	v_sub_f16_e32 v31, v0, v1
	v_add_f16_e32 v19, v19, v34
	v_fmamk_f16 v33, v6, 0x36a6, v35
	v_mul_f16_e32 v2, 0x36a6, v2
	v_add_f16_e32 v29, v36, v29
	v_add_f16_e32 v34, v5, v14
	v_mul_f16_e32 v36, 0xb482, v31
	v_add_f16_e32 v0, v0, v1
	v_fmac_f16_e32 v38, 0xb853, v13
	v_add_f16_e32 v32, v33, v32
	v_fmamk_f16 v33, v13, 0xbb47, v2
	v_fma_f16 v1, v6, 0x36a6, -v35
	v_fmac_f16_e32 v2, 0x3b47, v13
	v_sub_f16_e32 v5, v5, v14
	v_fmamk_f16 v6, v34, 0xbbad, v36
	v_mul_f16_e32 v13, 0xbbad, v0
	v_add_f16_e32 v1, v1, v12
	v_add_f16_e32 v2, v2, v3
	v_mul_f16_e32 v12, 0x3853, v31
	v_add_f16_e32 v3, v6, v17
	v_fmamk_f16 v6, v5, 0x3482, v13
	v_add_f16_e32 v14, v33, v26
	v_fma_f16 v17, v34, 0xbbad, -v36
	v_fmac_f16_e32 v13, 0xb482, v5
	v_mul_f16_e32 v26, 0x3abb, v0
	v_add_f16_e32 v6, v6, v9
	v_fmamk_f16 v9, v34, 0x3abb, v12
	v_add_f16_e32 v4, v17, v4
	v_add_f16_e32 v13, v13, v15
	v_fmamk_f16 v15, v5, 0xb853, v26
	v_mul_f16_e32 v17, 0xba0c, v31
	v_add_f16_e32 v9, v9, v10
	v_fma_f16 v10, v34, 0x3abb, -v12
	v_fmac_f16_e32 v26, 0x3853, v5
	v_add_f16_e32 v12, v15, v18
	v_fmamk_f16 v15, v34, 0xb93d, v17
	v_mul_f16_e32 v18, 0xb93d, v0
	v_add_f16_e32 v10, v10, v11
	v_add_f16_e32 v11, v26, v20
	v_mul_f16_e32 v20, 0x3b47, v31
	v_add_f16_e32 v30, v38, v30
	v_add_f16_e32 v15, v15, v21
	v_fmamk_f16 v21, v5, 0x3a0c, v18
	v_fma_f16 v17, v34, 0xb93d, -v17
	v_fmac_f16_e32 v18, 0xba0c, v5
	v_fmamk_f16 v26, v34, 0x36a6, v20
	v_mul_f16_e32 v33, 0x36a6, v0
	v_fma_f16 v20, v34, 0x36a6, -v20
	v_add_f16_e32 v16, v17, v16
	v_add_f16_e32 v17, v18, v30
	;; [unrolled: 1-line block ×3, first 2 shown]
	v_mul_f16_e32 v26, 0xbbeb, v31
	v_mul_f16_e32 v0, 0xb08e, v0
	v_add_f16_e32 v21, v21, v22
	v_fmamk_f16 v22, v5, 0xbb47, v33
	v_add_f16_e32 v20, v20, v28
	v_fmamk_f16 v27, v34, 0xb08e, v26
	v_fmamk_f16 v28, v5, 0x3beb, v0
	v_fmac_f16_e32 v33, 0x3b47, v5
	v_fma_f16 v26, v34, 0xb08e, -v26
	v_fmac_f16_e32 v0, 0xbbeb, v5
	v_pack_b32_f16 v3, v3, v6
	v_add_f16_e32 v19, v22, v19
	v_add_f16_e32 v5, v27, v32
	;; [unrolled: 1-line block ×6, first 2 shown]
	ds_write2_b32 v25, v7, v3 offset1:13
	v_pack_b32_f16 v2, v9, v12
	v_pack_b32_f16 v3, v15, v21
	v_pack_b32_f16 v7, v18, v19
	v_pack_b32_f16 v5, v5, v6
	v_pack_b32_f16 v0, v1, v0
	v_pack_b32_f16 v1, v20, v22
	v_pack_b32_f16 v6, v16, v17
	v_pack_b32_f16 v9, v10, v11
	v_pack_b32_f16 v4, v4, v13
	ds_write2_b32 v25, v2, v3 offset0:26 offset1:39
	ds_write2_b32 v25, v7, v5 offset0:52 offset1:65
	;; [unrolled: 1-line block ×4, first 2 shown]
	ds_write_b32 v25, v4 offset:520
	s_waitcnt lgkmcnt(0)
	s_barrier
	buffer_gl0_inv
	s_and_b32 exec_lo, exec_lo, vcc_lo
	s_cbranch_execz .LBB0_15
; %bb.14:
	s_clause 0x5
	global_load_dword v2, v23, s[20:21]
	global_load_dword v3, v23, s[20:21] offset:44
	global_load_dword v9, v23, s[20:21] offset:88
	;; [unrolled: 1-line block ×5, first 2 shown]
	v_mad_u64_u32 v[11:12], null, s2, v8, 0
	v_mad_u64_u32 v[13:14], null, s0, v24, 0
	ds_read_b32 v27, v25
	ds_read2_b32 v[15:16], v25 offset0:11 offset1:22
	ds_read2_b32 v[17:18], v25 offset0:33 offset1:44
	;; [unrolled: 1-line block ×3, first 2 shown]
	v_mov_b32_e32 v4, v12
	s_mov_b32 s22, 0x55ee191
	v_mov_b32_e32 v5, v14
	s_mov_b32 s23, 0x3f7ca4b3
	s_mul_i32 s2, s1, 44
	s_mul_hi_u32 s24, s0, 44
	s_mul_i32 s19, s0, 44
	v_mad_u64_u32 v[19:20], null, s3, v8, v[4:5]
	v_mad_u64_u32 v[20:21], null, s1, v24, v[5:6]
	s_add_i32 s24, s24, s2
	s_clause 0x3
	global_load_dword v7, v23, s[20:21] offset:264
	global_load_dword v4, v23, s[20:21] offset:308
	;; [unrolled: 1-line block ×4, first 2 shown]
	v_mov_b32_e32 v12, v19
	s_waitcnt lgkmcnt(3)
	v_lshrrev_b32_e32 v8, 16, v27
	s_waitcnt lgkmcnt(2)
	v_lshrrev_b32_e32 v19, 16, v15
	v_lshrrev_b32_e32 v21, 16, v16
	v_mov_b32_e32 v14, v20
	v_lshlrev_b64 v[11:12], 2, v[11:12]
	s_waitcnt lgkmcnt(1)
	v_lshrrev_b32_e32 v20, 16, v17
	v_lshrrev_b32_e32 v24, 16, v18
	s_waitcnt lgkmcnt(0)
	v_lshrrev_b32_e32 v28, 16, v0
	v_lshlrev_b64 v[13:14], 2, v[13:14]
	v_add_co_u32 v38, vcc_lo, s6, v11
	v_add_co_ci_u32_e32 v39, vcc_lo, s7, v12, vcc_lo
	s_waitcnt vmcnt(9)
	v_mul_f16_sdwa v11, v8, v2 dst_sel:DWORD dst_unused:UNUSED_PAD src0_sel:DWORD src1_sel:WORD_1
	v_mul_f16_sdwa v12, v27, v2 dst_sel:DWORD dst_unused:UNUSED_PAD src0_sel:DWORD src1_sel:WORD_1
	s_waitcnt vmcnt(8)
	v_mul_f16_sdwa v29, v19, v3 dst_sel:DWORD dst_unused:UNUSED_PAD src0_sel:DWORD src1_sel:WORD_1
	v_mul_f16_sdwa v30, v15, v3 dst_sel:DWORD dst_unused:UNUSED_PAD src0_sel:DWORD src1_sel:WORD_1
	s_waitcnt vmcnt(7)
	v_mul_f16_sdwa v31, v21, v9 dst_sel:DWORD dst_unused:UNUSED_PAD src0_sel:DWORD src1_sel:WORD_1
	v_fmac_f16_e32 v11, v27, v2
	v_mul_f16_sdwa v32, v16, v9 dst_sel:DWORD dst_unused:UNUSED_PAD src0_sel:DWORD src1_sel:WORD_1
	v_fma_f16 v2, v2, v8, -v12
	v_fmac_f16_e32 v29, v15, v3
	v_fma_f16 v8, v3, v19, -v30
	v_cvt_f32_f16_e32 v3, v11
	s_waitcnt vmcnt(6)
	v_mul_f16_sdwa v33, v20, v10 dst_sel:DWORD dst_unused:UNUSED_PAD src0_sel:DWORD src1_sel:WORD_1
	v_mul_f16_sdwa v34, v17, v10 dst_sel:DWORD dst_unused:UNUSED_PAD src0_sel:DWORD src1_sel:WORD_1
	s_waitcnt vmcnt(5)
	v_mul_f16_sdwa v36, v18, v22 dst_sel:DWORD dst_unused:UNUSED_PAD src0_sel:DWORD src1_sel:WORD_1
	v_fmac_f16_e32 v31, v16, v9
	v_fma_f16 v9, v9, v21, -v32
	v_cvt_f32_f16_e32 v12, v2
	v_cvt_f64_f32_e32 v[2:3], v3
	v_fmac_f16_e32 v33, v17, v10
	v_fma_f16 v10, v10, v20, -v34
	v_fma_f16 v11, v22, v24, -v36
	v_cvt_f32_f16_e32 v15, v29
	v_cvt_f32_f16_e32 v16, v8
	;; [unrolled: 1-line block ×3, first 2 shown]
	v_cvt_f64_f32_e32 v[8:9], v12
	v_mul_f16_sdwa v35, v24, v22 dst_sel:DWORD dst_unused:UNUSED_PAD src0_sel:DWORD src1_sel:WORD_1
	v_cvt_f32_f16_e32 v24, v10
	v_cvt_f32_f16_e32 v30, v11
	v_cvt_f64_f32_e32 v[10:11], v15
	s_waitcnt vmcnt(4)
	v_mul_f16_sdwa v37, v28, v26 dst_sel:DWORD dst_unused:UNUSED_PAD src0_sel:DWORD src1_sel:WORD_1
	v_cvt_f32_f16_e32 v17, v31
	v_cvt_f64_f32_e32 v[15:16], v16
	v_fmac_f16_e32 v35, v18, v22
	v_cvt_f32_f16_e32 v12, v33
	v_fmac_f16_e32 v37, v0, v26
	v_cvt_f64_f32_e32 v[17:18], v17
	v_cvt_f64_f32_e32 v[19:20], v19
	v_mul_f16_sdwa v40, v0, v26 dst_sel:DWORD dst_unused:UNUSED_PAD src0_sel:DWORD src1_sel:WORD_1
	v_cvt_f64_f32_e32 v[21:22], v12
	v_cvt_f32_f16_e32 v32, v37
	v_mul_f64 v[36:37], v[2:3], s[22:23]
	v_add_co_u32 v12, vcc_lo, v38, v13
	v_fma_f16 v0, v26, v28, -v40
	v_cvt_f32_f16_e32 v28, v35
	v_cvt_f64_f32_e32 v[26:27], v24
	v_mul_f64 v[8:9], v[8:9], s[22:23]
	v_add_co_ci_u32_e32 v13, vcc_lo, v39, v14, vcc_lo
	v_cvt_f32_f16_e32 v0, v0
	v_mul_f64 v[10:11], v[10:11], s[22:23]
	v_cvt_f64_f32_e32 v[28:29], v28
	v_add_co_u32 v38, vcc_lo, v12, s19
	v_mul_f64 v[14:15], v[15:16], s[22:23]
	v_add_co_ci_u32_e32 v39, vcc_lo, s24, v13, vcc_lo
	v_mul_f64 v[16:17], v[17:18], s[22:23]
	v_cvt_f64_f32_e32 v[34:35], v0
	v_cvt_f64_f32_e32 v[30:31], v30
	v_add_co_u32 v40, vcc_lo, v38, s19
	v_and_or_b32 v0, 0x1ff, v37, v36
	v_mul_f64 v[18:19], v[19:20], s[22:23]
	v_add_co_ci_u32_e32 v41, vcc_lo, s24, v39, vcc_lo
	v_cvt_f64_f32_e32 v[32:33], v32
	v_cmp_ne_u32_e32 vcc_lo, 0, v0
	v_and_or_b32 v8, 0x1ff, v9, v8
	v_mul_f64 v[20:21], v[21:22], s[22:23]
	v_mul_f64 v[26:27], v[26:27], s[22:23]
	v_lshrrev_b32_e32 v22, 8, v37
	v_and_or_b32 v10, 0x1ff, v11, v10
	v_cndmask_b32_e64 v0, 0, 1, vcc_lo
	v_cmp_ne_u32_e32 vcc_lo, 0, v8
	v_mul_f64 v[28:29], v[28:29], s[22:23]
	v_and_or_b32 v14, 0x1ff, v15, v14
	v_bfe_u32 v24, v37, 20, 11
	v_bfe_u32 v36, v9, 20, 11
	v_cndmask_b32_e64 v8, 0, 1, vcc_lo
	v_cmp_ne_u32_e32 vcc_lo, 0, v10
	v_and_or_b32 v16, 0x1ff, v17, v16
	v_mul_f64 v[30:31], v[30:31], s[22:23]
	v_mul_f64 v[2:3], v[34:35], s[22:23]
	v_lshrrev_b32_e32 v35, 8, v9
	v_cndmask_b32_e64 v10, 0, 1, vcc_lo
	v_cmp_ne_u32_e32 vcc_lo, 0, v14
	v_and_or_b32 v18, 0x1ff, v19, v18
	v_mul_f64 v[32:33], v[32:33], s[22:23]
	v_and_or_b32 v0, 0xffe, v22, v0
	v_lshrrev_b32_e32 v34, 16, v37
	v_cndmask_b32_e64 v14, 0, 1, vcc_lo
	v_cmp_ne_u32_e32 vcc_lo, 0, v16
	v_and_or_b32 v20, 0x1ff, v21, v20
	v_and_or_b32 v26, 0x1ff, v27, v26
	v_lshrrev_b32_e32 v37, 8, v11
	v_bfe_u32 v42, v11, 20, 11
	v_cndmask_b32_e64 v16, 0, 1, vcc_lo
	v_cmp_ne_u32_e32 vcc_lo, 0, v18
	v_and_or_b32 v28, 0x1ff, v29, v28
	v_bfe_u32 v44, v15, 20, 11
	v_sub_nc_u32_e32 v59, 0x3f1, v24
	v_add_nc_u32_e32 v24, 0xfffffc10, v24
	v_cndmask_b32_e64 v18, 0, 1, vcc_lo
	v_cmp_ne_u32_e32 vcc_lo, 0, v20
	v_and_or_b32 v30, 0x1ff, v31, v30
	v_sub_nc_u32_e32 v60, 0x3f1, v36
	v_and_or_b32 v8, 0xffe, v35, v8
	v_lshrrev_b32_e32 v43, 8, v15
	v_cndmask_b32_e64 v20, 0, 1, vcc_lo
	v_cmp_ne_u32_e32 vcc_lo, 0, v26
	v_and_or_b32 v32, 0x1ff, v33, v32
	v_bfe_u32 v46, v17, 20, 11
	v_bfe_u32 v48, v19, 20, 11
	v_add_nc_u32_e32 v36, 0xfffffc10, v36
	v_cndmask_b32_e64 v26, 0, 1, vcc_lo
	v_cmp_ne_u32_e32 vcc_lo, 0, v28
	v_sub_nc_u32_e32 v61, 0x3f1, v42
	v_sub_nc_u32_e32 v62, 0x3f1, v44
	v_med3_i32 v22, v59, 0, 13
	v_med3_i32 v35, v60, 0, 13
	v_cndmask_b32_e64 v28, 0, 1, vcc_lo
	v_cmp_ne_u32_e32 vcc_lo, 0, v30
	v_and_or_b32 v10, 0xffe, v37, v10
	v_or_b32_e32 v59, 0x1000, v0
	v_lshl_or_b32 v60, v24, 12, v0
	v_lshrrev_b32_e32 v45, 8, v17
	v_cndmask_b32_e64 v30, 0, 1, vcc_lo
	v_cmp_ne_u32_e32 vcc_lo, 0, v32
	v_lshrrev_b32_e32 v47, 8, v19
	v_bfe_u32 v50, v21, 20, 11
	v_bfe_u32 v52, v27, 20, 11
	v_add_nc_u32_e32 v42, 0xfffffc10, v42
	v_cndmask_b32_e64 v32, 0, 1, vcc_lo
	v_cmp_ne_u32_e32 vcc_lo, 0, v0
	v_sub_nc_u32_e32 v63, 0x3f1, v46
	v_sub_nc_u32_e32 v64, 0x3f1, v48
	v_med3_i32 v37, v61, 0, 13
	v_and_or_b32 v14, 0xffe, v43, v14
	v_cndmask_b32_e64 v0, 0, 1, vcc_lo
	v_cmp_ne_u32_e32 vcc_lo, 0, v8
	v_med3_i32 v43, v62, 0, 13
	v_or_b32_e32 v61, 0x1000, v8
	v_lshl_or_b32 v62, v36, 12, v8
	v_lshrrev_b32_e32 v49, 8, v21
	v_cndmask_b32_e64 v8, 0, 1, vcc_lo
	v_cmp_ne_u32_e32 vcc_lo, 0, v10
	v_lshrrev_b32_e32 v51, 8, v27
	v_bfe_u32 v54, v29, 20, 11
	v_bfe_u32 v56, v31, 20, 11
	v_add_nc_u32_e32 v44, 0xfffffc10, v44
	v_sub_nc_u32_e32 v65, 0x3f1, v50
	v_sub_nc_u32_e32 v66, 0x3f1, v52
	v_and_or_b32 v16, 0xffe, v45, v16
	v_med3_i32 v45, v63, 0, 13
	v_and_or_b32 v18, 0xffe, v47, v18
	v_med3_i32 v47, v64, 0, 13
	v_or_b32_e32 v63, 0x1000, v10
	v_lshl_or_b32 v64, v42, 12, v10
	v_cndmask_b32_e64 v10, 0, 1, vcc_lo
	v_cmp_ne_u32_e32 vcc_lo, 0, v14
	v_lshrrev_b32_e32 v53, 8, v29
	v_lshrrev_b32_e32 v55, 8, v31
	v_bfe_u32 v58, v33, 20, 11
	v_add_nc_u32_e32 v46, 0xfffffc10, v46
	v_sub_nc_u32_e32 v67, 0x3f1, v54
	v_sub_nc_u32_e32 v68, 0x3f1, v56
	v_and_or_b32 v20, 0xffe, v49, v20
	v_med3_i32 v49, v65, 0, 13
	v_and_or_b32 v26, 0xffe, v51, v26
	v_med3_i32 v51, v66, 0, 13
	v_or_b32_e32 v65, 0x1000, v14
	v_lshl_or_b32 v66, v44, 12, v14
	v_cndmask_b32_e64 v14, 0, 1, vcc_lo
	v_cmp_ne_u32_e32 vcc_lo, 0, v16
	v_lshrrev_b32_e32 v57, 8, v33
	v_add_nc_u32_e32 v48, 0xfffffc10, v48
	v_sub_nc_u32_e32 v69, 0x3f1, v58
	v_and_or_b32 v28, 0xffe, v53, v28
	v_med3_i32 v53, v67, 0, 13
	v_and_or_b32 v30, 0xffe, v55, v30
	v_med3_i32 v55, v68, 0, 13
	v_or_b32_e32 v67, 0x1000, v16
	v_lshl_or_b32 v68, v46, 12, v16
	v_cndmask_b32_e64 v16, 0, 1, vcc_lo
	v_cmp_ne_u32_e32 vcc_lo, 0, v18
	v_add_nc_u32_e32 v50, 0xfffffc10, v50
	v_and_or_b32 v32, 0xffe, v57, v32
	v_med3_i32 v57, v69, 0, 13
	v_or_b32_e32 v69, 0x1000, v18
	v_lshl_or_b32 v70, v48, 12, v18
	v_cndmask_b32_e64 v18, 0, 1, vcc_lo
	v_cmp_ne_u32_e32 vcc_lo, 0, v20
	v_add_nc_u32_e32 v52, 0xfffffc10, v52
	v_or_b32_e32 v71, 0x1000, v20
	v_lshl_or_b32 v72, v50, 12, v20
	v_lshrrev_b32_e32 v80, v22, v59
	v_cndmask_b32_e64 v20, 0, 1, vcc_lo
	v_cmp_ne_u32_e32 vcc_lo, 0, v26
	v_add_nc_u32_e32 v54, 0xfffffc10, v54
	v_or_b32_e32 v73, 0x1000, v26
	v_lshl_or_b32 v74, v52, 12, v26
	v_lshrrev_b32_e32 v81, v35, v61
	v_cndmask_b32_e64 v26, 0, 1, vcc_lo
	v_cmp_ne_u32_e32 vcc_lo, 0, v28
	v_lshlrev_b32_e32 v22, v22, v80
	v_or_b32_e32 v75, 0x1000, v28
	v_lshl_or_b32 v76, v54, 12, v28
	v_lshrrev_b32_e32 v82, v37, v63
	v_cndmask_b32_e64 v28, 0, 1, vcc_lo
	v_lshlrev_b32_e32 v35, v35, v81
	v_cmp_ne_u32_e32 vcc_lo, v22, v59
	v_lshrrev_b32_e32 v83, v43, v65
	v_lshlrev_b32_e32 v37, v37, v82
	v_lshrrev_b32_e32 v84, v45, v67
	v_lshrrev_b32_e32 v85, v47, v69
	v_cndmask_b32_e64 v22, 0, 1, vcc_lo
	v_cmp_ne_u32_e32 vcc_lo, v35, v61
	v_lshlrev_b32_e32 v43, v43, v83
	v_lshlrev_b32_e32 v45, v45, v84
	v_lshrrev_b32_e32 v86, v49, v71
	v_lshlrev_b32_e32 v47, v47, v85
	v_cndmask_b32_e64 v35, 0, 1, vcc_lo
	v_cmp_ne_u32_e32 vcc_lo, v37, v63
	v_lshrrev_b32_e32 v87, v51, v73
	v_lshlrev_b32_e32 v49, v49, v86
	v_or_b32_e32 v77, 0x1000, v30
	v_lshrrev_b32_e32 v88, v53, v75
	v_cndmask_b32_e64 v37, 0, 1, vcc_lo
	v_cmp_ne_u32_e32 vcc_lo, v43, v65
	v_lshlrev_b32_e32 v51, v51, v87
	v_lshrrev_b32_e32 v89, v55, v77
	v_lshlrev_b32_e32 v53, v53, v88
	v_or_b32_e32 v22, v80, v22
	v_cndmask_b32_e64 v43, 0, 1, vcc_lo
	v_cmp_ne_u32_e32 vcc_lo, v45, v67
	v_lshlrev_b32_e32 v55, v55, v89
	v_or_b32_e32 v35, v81, v35
	v_or_b32_e32 v37, v82, v37
	;; [unrolled: 1-line block ×3, first 2 shown]
	v_cndmask_b32_e64 v45, 0, 1, vcc_lo
	v_cmp_ne_u32_e32 vcc_lo, v47, v69
	v_add_nc_u32_e32 v56, 0xfffffc10, v56
	v_lshl_or_b32 v0, v0, 9, 0x7c00
	v_lshl_or_b32 v8, v8, 9, 0x7c00
	v_or_b32_e32 v45, v84, v45
	v_cndmask_b32_e64 v47, 0, 1, vcc_lo
	v_cmp_ne_u32_e32 vcc_lo, v49, v71
	v_lshl_or_b32 v78, v56, 12, v30
	v_lshl_or_b32 v10, v10, 9, 0x7c00
	v_lshl_or_b32 v14, v14, 9, 0x7c00
	v_or_b32_e32 v47, v85, v47
	v_cndmask_b32_e64 v49, 0, 1, vcc_lo
	v_cmp_ne_u32_e32 vcc_lo, v51, v73
	v_lshl_or_b32 v16, v16, 9, 0x7c00
	v_lshl_or_b32 v18, v18, 9, 0x7c00
	v_lshrrev_b32_e32 v9, 16, v9
	v_or_b32_e32 v49, v86, v49
	v_cndmask_b32_e64 v51, 0, 1, vcc_lo
	v_cmp_ne_u32_e32 vcc_lo, v53, v75
	v_lshrrev_b32_e32 v11, 16, v11
	v_lshl_or_b32 v20, v20, 9, 0x7c00
	v_lshrrev_b32_e32 v17, 16, v17
	v_or_b32_e32 v51, v87, v51
	v_cndmask_b32_e64 v53, 0, 1, vcc_lo
	v_cmp_ne_u32_e32 vcc_lo, v55, v77
	v_lshrrev_b32_e32 v15, 16, v15
	v_lshl_or_b32 v26, v26, 9, 0x7c00
	v_lshrrev_b32_e32 v19, 16, v19
	v_or_b32_e32 v53, v88, v53
	v_cndmask_b32_e64 v55, 0, 1, vcc_lo
	v_cmp_gt_i32_e32 vcc_lo, 1, v24
	v_lshl_or_b32 v28, v28, 9, 0x7c00
	v_or_b32_e32 v79, 0x1000, v32
	v_lshrrev_b32_e32 v21, 16, v21
	v_or_b32_e32 v55, v89, v55
	v_cndmask_b32_e32 v22, v60, v22, vcc_lo
	v_cmp_gt_i32_e32 vcc_lo, 1, v36
	v_and_or_b32 v2, 0x1ff, v3, v2
	v_lshrrev_b32_e32 v27, 16, v27
	v_and_b32_e32 v59, 7, v22
	v_cndmask_b32_e32 v35, v62, v35, vcc_lo
	v_cmp_gt_i32_e32 vcc_lo, 1, v42
	v_lshrrev_b32_e32 v22, 2, v22
	v_cmp_eq_u32_e64 s0, 3, v59
	v_and_b32_e32 v60, 7, v35
	v_cndmask_b32_e32 v37, v64, v37, vcc_lo
	v_cmp_gt_i32_e32 vcc_lo, 1, v44
	v_lshrrev_b32_e32 v35, 2, v35
	v_cmp_lt_i32_e64 s1, 5, v60
	v_and_b32_e32 v61, 7, v37
	v_cndmask_b32_e32 v43, v66, v43, vcc_lo
	v_cmp_gt_i32_e32 vcc_lo, 1, v46
	v_cmp_eq_u32_e64 s2, 3, v60
	v_lshrrev_b32_e32 v37, 2, v37
	v_cmp_lt_i32_e64 s3, 5, v61
	v_and_b32_e32 v62, 7, v43
	v_cndmask_b32_e32 v45, v68, v45, vcc_lo
	v_cmp_gt_i32_e32 vcc_lo, 1, v48
	v_cmp_eq_u32_e64 s4, 3, v61
	;; [unrolled: 6-line block ×6, first 2 shown]
	v_lshrrev_b32_e32 v51, 2, v51
	v_cmp_lt_i32_e64 s13, 5, v66
	v_and_b32_e32 v67, 7, v53
	v_cndmask_b32_e32 v55, v78, v55, vcc_lo
	v_cmp_lt_i32_e32 vcc_lo, 5, v59
	v_cmp_eq_u32_e64 s14, 3, v66
	v_lshrrev_b32_e32 v53, 2, v53
	v_cmp_lt_i32_e64 s15, 5, v67
	v_and_b32_e32 v68, 7, v55
	s_or_b32 vcc_lo, s0, vcc_lo
	v_cmp_eq_u32_e64 s16, 3, v67
	v_add_co_ci_u32_e32 v22, vcc_lo, 0, v22, vcc_lo
	s_or_b32 vcc_lo, s2, s1
	v_cmp_lt_i32_e64 s17, 5, v68
	v_add_co_ci_u32_e32 v35, vcc_lo, 0, v35, vcc_lo
	s_or_b32 vcc_lo, s4, s3
	v_cmp_eq_u32_e64 s18, 3, v68
	v_add_co_ci_u32_e32 v37, vcc_lo, 0, v37, vcc_lo
	s_or_b32 vcc_lo, s6, s5
	v_lshrrev_b32_e32 v55, 2, v55
	v_add_co_ci_u32_e32 v43, vcc_lo, 0, v43, vcc_lo
	s_or_b32 vcc_lo, s8, s7
	v_add_co_ci_u32_e32 v45, vcc_lo, 0, v45, vcc_lo
	s_or_b32 vcc_lo, s10, s9
	;; [unrolled: 2-line block ×6, first 2 shown]
	v_add_co_ci_u32_e32 v55, vcc_lo, 0, v55, vcc_lo
	v_cmp_gt_i32_e32 vcc_lo, 31, v24
	v_cndmask_b32_e32 v22, 0x7c00, v22, vcc_lo
	v_cmp_gt_i32_e32 vcc_lo, 31, v36
	v_cndmask_b32_e32 v35, 0x7c00, v35, vcc_lo
	;; [unrolled: 2-line block ×9, first 2 shown]
	v_cmp_eq_u32_e32 vcc_lo, 0x40f, v24
	v_cndmask_b32_e32 v0, v22, v0, vcc_lo
	v_cmp_eq_u32_e32 vcc_lo, 0x40f, v36
	v_and_or_b32 v0, 0x8000, v34, v0
	v_cndmask_b32_e32 v8, v35, v8, vcc_lo
	v_cmp_eq_u32_e32 vcc_lo, 0x40f, v42
	v_and_b32_e32 v0, 0xffff, v0
	v_and_or_b32 v8, 0x8000, v9, v8
	v_cndmask_b32_e32 v10, v37, v10, vcc_lo
	v_cmp_eq_u32_e32 vcc_lo, 0x40f, v44
	v_lshl_or_b32 v0, v8, 16, v0
	v_and_or_b32 v9, 0x8000, v11, v10
	v_cndmask_b32_e32 v14, v43, v14, vcc_lo
	v_cmp_eq_u32_e32 vcc_lo, 0x40f, v46
	v_and_b32_e32 v9, 0xffff, v9
	v_and_or_b32 v10, 0x8000, v15, v14
	v_cndmask_b32_e32 v16, v45, v16, vcc_lo
	v_cmp_eq_u32_e32 vcc_lo, 0x40f, v48
	v_lshl_or_b32 v8, v10, 16, v9
	v_and_or_b32 v11, 0x8000, v17, v16
	v_cndmask_b32_e32 v18, v47, v18, vcc_lo
	v_cmp_eq_u32_e32 vcc_lo, 0x40f, v50
	v_add_nc_u32_e32 v17, 0xfffffc10, v58
	v_and_b32_e32 v11, 0xffff, v11
	v_and_or_b32 v14, 0x8000, v19, v18
	v_cndmask_b32_e32 v20, v49, v20, vcc_lo
	v_cmp_eq_u32_e32 vcc_lo, 0x40f, v52
	v_lshl_or_b32 v9, v14, 16, v11
	global_store_dword v[12:13], v0, off
	global_store_dword v[38:39], v8, off
	global_store_dword v[40:41], v9, off
	v_cndmask_b32_e32 v22, v51, v26, vcc_lo
	v_cmp_eq_u32_e32 vcc_lo, 0x40f, v54
	v_lshrrev_b32_e32 v8, v57, v79
	v_lshrrev_b32_e32 v13, 16, v1
	v_lshrrev_b32_e32 v9, 16, v29
	v_and_or_b32 v15, 0x8000, v21, v20
	v_cndmask_b32_e32 v10, v53, v28, vcc_lo
	v_cmp_ne_u32_e32 vcc_lo, 0, v30
	v_lshlrev_b32_e32 v12, v57, v8
	v_and_or_b32 v16, 0x8000, v27, v22
	v_and_b32_e32 v15, 0xffff, v15
	v_and_or_b32 v10, 0x8000, v9, v10
	v_cndmask_b32_e64 v0, 0, 1, vcc_lo
	v_cmp_gt_i32_e32 vcc_lo, 31, v56
	v_lshrrev_b32_e32 v14, 8, v3
	v_lshl_or_b32 v16, v16, 16, v15
	v_bfe_u32 v15, v3, 20, 11
	v_lshl_or_b32 v0, v0, 9, 0x7c00
	v_cndmask_b32_e32 v11, 0x7c00, v55, vcc_lo
	v_cmp_eq_u32_e32 vcc_lo, 0x40f, v56
	global_load_dword v19, v23, s[20:21] offset:440
	v_cndmask_b32_e32 v0, v11, v0, vcc_lo
	v_cmp_ne_u32_e32 vcc_lo, v12, v79
	s_waitcnt vmcnt(4)
	v_mul_f16_sdwa v11, v13, v7 dst_sel:DWORD dst_unused:UNUSED_PAD src0_sel:DWORD src1_sel:WORD_1
	v_lshrrev_b32_e32 v12, 16, v31
	v_cndmask_b32_e64 v9, 0, 1, vcc_lo
	v_fmac_f16_e32 v11, v1, v7
	v_cmp_ne_u32_e32 vcc_lo, 0, v2
	v_and_or_b32 v0, 0x8000, v12, v0
	v_and_b32_e32 v12, 0xffff, v10
	v_or_b32_e32 v8, v8, v9
	v_lshl_or_b32 v9, v17, 12, v32
	v_cndmask_b32_e64 v2, 0, 1, vcc_lo
	v_cvt_f32_f16_e32 v11, v11
	v_cmp_gt_i32_e32 vcc_lo, 1, v17
	v_lshl_or_b32 v24, v0, 16, v12
	v_mul_f16_sdwa v1, v1, v7 dst_sel:DWORD dst_unused:UNUSED_PAD src0_sel:DWORD src1_sel:WORD_1
	v_and_or_b32 v2, 0xffe, v14, v2
	v_cndmask_b32_e32 v18, v9, v8, vcc_lo
	v_cvt_f64_f32_e32 v[8:9], v11
	v_sub_nc_u32_e32 v11, 0x3f1, v15
	v_or_b32_e32 v20, 0x1000, v2
	v_add_co_u32 v10, vcc_lo, v40, s19
	v_and_b32_e32 v14, 7, v18
	v_med3_i32 v21, v11, 0, 13
	v_add_co_ci_u32_e32 v11, vcc_lo, s24, v41, vcc_lo
	v_lshrrev_b32_e32 v0, 2, v18
	v_cmp_lt_i32_e32 vcc_lo, 5, v14
	v_lshrrev_b32_e32 v22, v21, v20
	v_cmp_eq_u32_e64 s0, 3, v14
	v_fma_f16 v7, v7, v13, -v1
	v_lshlrev_b32_e32 v12, v21, v22
	s_or_b32 vcc_lo, s0, vcc_lo
	v_cvt_f32_f16_e32 v7, v7
	v_add_co_ci_u32_e32 v14, vcc_lo, 0, v0, vcc_lo
	v_cmp_ne_u32_e32 vcc_lo, v12, v20
	v_mul_f64 v[0:1], v[8:9], s[22:23]
	v_add_nc_u32_e32 v9, 0xfffffc10, v15
	v_cndmask_b32_e64 v8, 0, 1, vcc_lo
	v_cmp_ne_u32_e32 vcc_lo, 0, v32
	v_lshl_or_b32 v18, v9, 12, v2
	v_or_b32_e32 v15, v22, v8
	v_cndmask_b32_e64 v12, 0, 1, vcc_lo
	v_cmp_gt_i32_e32 vcc_lo, 31, v17
	v_cvt_f64_f32_e32 v[7:8], v7
	v_lshl_or_b32 v21, v12, 9, 0x7c00
	v_cndmask_b32_e32 v20, 0x7c00, v14, vcc_lo
	v_cmp_gt_i32_e32 vcc_lo, 1, v9
	ds_read2_b32 v[12:13], v25 offset0:77 offset1:88
	v_cndmask_b32_e32 v18, v18, v15, vcc_lo
	v_add_co_u32 v14, vcc_lo, v10, s19
	v_and_or_b32 v0, 0x1ff, v1, v0
	v_add_co_ci_u32_e32 v15, vcc_lo, s24, v11, vcc_lo
	v_and_b32_e32 v22, 7, v18
	v_cmp_eq_u32_e32 vcc_lo, 0x40f, v17
	v_cmp_ne_u32_e64 s1, 0, v0
	v_lshrrev_b32_e32 v18, 2, v18
	v_cmp_eq_u32_e64 s0, 3, v22
	v_cndmask_b32_e32 v17, v20, v21, vcc_lo
	v_cmp_lt_i32_e32 vcc_lo, 5, v22
	v_cndmask_b32_e64 v0, 0, 1, s1
	v_lshrrev_b32_e32 v21, 8, v1
	v_bfe_u32 v22, v1, 20, 11
	v_mul_f64 v[7:8], v[7:8], s[22:23]
	s_or_b32 vcc_lo, s0, vcc_lo
	s_waitcnt lgkmcnt(0)
	v_lshrrev_b32_e32 v26, 16, v12
	v_add_co_ci_u32_e32 v18, vcc_lo, 0, v18, vcc_lo
	v_and_or_b32 v0, 0xffe, v21, v0
	v_sub_nc_u32_e32 v21, 0x3f1, v22
	v_cmp_ne_u32_e32 vcc_lo, 0, v2
	s_waitcnt vmcnt(3)
	v_mul_f16_sdwa v27, v26, v4 dst_sel:DWORD dst_unused:UNUSED_PAD src0_sel:DWORD src1_sel:WORD_1
	v_lshrrev_b32_e32 v20, 16, v33
	v_or_b32_e32 v28, 0x1000, v0
	v_med3_i32 v21, v21, 0, 13
	v_cndmask_b32_e64 v2, 0, 1, vcc_lo
	v_cmp_gt_i32_e32 vcc_lo, 31, v9
	v_fmac_f16_e32 v27, v12, v4
	v_and_or_b32 v17, 0x8000, v20, v17
	v_lshrrev_b32_e32 v29, v21, v28
	v_lshl_or_b32 v2, v2, 9, 0x7c00
	v_cndmask_b32_e32 v18, 0x7c00, v18, vcc_lo
	v_cmp_eq_u32_e32 vcc_lo, 0x40f, v9
	v_cvt_f32_f16_e32 v20, v27
	v_add_nc_u32_e32 v22, 0xfffffc10, v22
	v_and_or_b32 v7, 0x1ff, v8, v7
	v_lshrrev_b32_e32 v27, 8, v8
	v_cndmask_b32_e32 v9, v18, v2, vcc_lo
	v_lshlrev_b32_e32 v18, v21, v29
	v_lshrrev_b32_e32 v21, 16, v3
	v_cvt_f64_f32_e32 v[2:3], v20
	global_load_dword v20, v23, s[20:21] offset:484
	v_and_b32_e32 v17, 0xffff, v17
	v_cmp_ne_u32_e32 vcc_lo, v18, v28
	v_bfe_u32 v28, v8, 20, 11
	v_and_or_b32 v9, 0x8000, v21, v9
	v_lshl_or_b32 v21, v22, 12, v0
	global_store_dword v[10:11], v16, off
	global_store_dword v[14:15], v24, off
	v_cndmask_b32_e64 v18, 0, 1, vcc_lo
	v_cmp_ne_u32_e32 vcc_lo, 0, v7
	v_lshl_or_b32 v16, v9, 16, v17
	v_mul_f16_sdwa v12, v12, v4 dst_sel:DWORD dst_unused:UNUSED_PAD src0_sel:DWORD src1_sel:WORD_1
	v_or_b32_e32 v18, v29, v18
	v_cndmask_b32_e64 v7, 0, 1, vcc_lo
	v_cmp_gt_i32_e32 vcc_lo, 1, v22
	v_fma_f16 v4, v4, v26, -v12
	v_lshrrev_b32_e32 v26, 16, v1
	v_and_or_b32 v7, 0xffe, v27, v7
	v_sub_nc_u32_e32 v27, 0x3f1, v28
	v_cndmask_b32_e32 v18, v21, v18, vcc_lo
	v_mul_f64 v[2:3], v[2:3], s[22:23]
	v_add_co_u32 v9, vcc_lo, v14, s19
	v_or_b32_e32 v21, 0x1000, v7
	v_med3_i32 v27, v27, 0, 13
	v_and_b32_e32 v11, 7, v18
	v_add_co_ci_u32_e32 v10, vcc_lo, s24, v15, vcc_lo
	v_add_nc_u32_e32 v15, 0xfffffc10, v28
	v_lshrrev_b32_e32 v17, v27, v21
	v_cmp_lt_i32_e32 vcc_lo, 5, v11
	v_cmp_eq_u32_e64 s0, 3, v11
	v_lshrrev_b32_e32 v11, 2, v18
	v_cvt_f32_f16_e32 v4, v4
	v_lshlrev_b32_e32 v14, v27, v17
	global_store_dword v[9:10], v16, off
	s_or_b32 vcc_lo, s0, vcc_lo
	v_add_co_ci_u32_e32 v18, vcc_lo, 0, v11, vcc_lo
	v_cmp_ne_u32_e64 s1, v14, v21
	v_cmp_ne_u32_e32 vcc_lo, 0, v0
	v_cvt_f64_f32_e32 v[11:12], v4
	v_and_or_b32 v2, 0x1ff, v3, v2
	v_bfe_u32 v21, v3, 20, 11
	v_cndmask_b32_e64 v14, 0, 1, s1
	v_cndmask_b32_e64 v0, 0, 1, vcc_lo
	v_cmp_gt_i32_e32 vcc_lo, 1, v15
	v_or_b32_e32 v14, v17, v14
	v_lshl_or_b32 v17, v15, 12, v7
	v_lshl_or_b32 v0, v0, 9, 0x7c00
	v_cndmask_b32_e32 v4, v17, v14, vcc_lo
	v_cmp_gt_i32_e32 vcc_lo, 31, v22
	v_and_b32_e32 v17, 7, v4
	v_cndmask_b32_e32 v14, 0x7c00, v18, vcc_lo
	v_cmp_ne_u32_e32 vcc_lo, 0, v2
	v_lshrrev_b32_e32 v18, 8, v3
	v_mul_f64 v[11:12], v[11:12], s[22:23]
	v_cmp_eq_u32_e64 s0, 3, v17
	v_lshrrev_b32_e32 v4, 2, v4
	v_cndmask_b32_e64 v2, 0, 1, vcc_lo
	v_cmp_eq_u32_e32 vcc_lo, 0x40f, v22
	v_and_or_b32 v2, 0xffe, v18, v2
	v_cndmask_b32_e32 v14, v14, v0, vcc_lo
	v_cmp_lt_i32_e32 vcc_lo, 5, v17
	v_lshrrev_b32_e32 v17, 16, v13
	v_sub_nc_u32_e32 v0, 0x3f1, v21
	v_or_b32_e32 v18, 0x1000, v2
	v_and_or_b32 v14, 0x8000, v26, v14
	s_or_b32 vcc_lo, s0, vcc_lo
	s_waitcnt vmcnt(3)
	v_mul_f16_sdwa v22, v17, v5 dst_sel:DWORD dst_unused:UNUSED_PAD src0_sel:DWORD src1_sel:WORD_1
	v_add_co_ci_u32_e32 v4, vcc_lo, 0, v4, vcc_lo
	v_med3_i32 v0, v0, 0, 13
	v_cmp_ne_u32_e32 vcc_lo, 0, v7
	v_fmac_f16_e32 v22, v13, v5
	v_and_or_b32 v11, 0x1ff, v12, v11
	v_and_b32_e32 v14, 0xffff, v14
	v_lshrrev_b32_e32 v24, v0, v18
	v_cndmask_b32_e64 v7, 0, 1, vcc_lo
	v_cmp_gt_i32_e32 vcc_lo, 31, v15
	v_cvt_f32_f16_e32 v1, v22
	v_lshlrev_b32_e32 v22, v0, v24
	v_lshl_or_b32 v7, v7, 9, 0x7c00
	v_cndmask_b32_e32 v4, 0x7c00, v4, vcc_lo
	v_cmp_eq_u32_e32 vcc_lo, 0x40f, v15
	v_cvt_f64_f32_e32 v[0:1], v1
	v_add_nc_u32_e32 v15, 0xfffffc10, v21
	v_bfe_u32 v21, v12, 20, 11
	v_cndmask_b32_e32 v4, v4, v7, vcc_lo
	v_cmp_ne_u32_e32 vcc_lo, v22, v18
	v_lshrrev_b32_e32 v7, 16, v8
	v_lshrrev_b32_e32 v18, 8, v12
	;; [unrolled: 1-line block ×3, first 2 shown]
	v_cndmask_b32_e64 v8, 0, 1, vcc_lo
	v_cmp_ne_u32_e32 vcc_lo, 0, v11
	v_and_or_b32 v4, 0x8000, v7, v4
	v_or_b32_e32 v7, v24, v8
	v_lshl_or_b32 v8, v15, 12, v2
	v_cndmask_b32_e64 v11, 0, 1, vcc_lo
	v_cmp_gt_i32_e32 vcc_lo, 1, v15
	v_lshl_or_b32 v4, v4, 16, v14
	v_and_or_b32 v11, 0xffe, v18, v11
	v_cndmask_b32_e32 v22, v8, v7, vcc_lo
	v_sub_nc_u32_e32 v7, 0x3f1, v21
	v_mul_f64 v[0:1], v[0:1], s[22:23]
	v_or_b32_e32 v16, 0x1000, v11
	v_and_b32_e32 v14, 7, v22
	v_med3_i32 v18, v7, 0, 13
	v_add_co_u32 v7, vcc_lo, v9, s19
	v_add_co_ci_u32_e32 v8, vcc_lo, s24, v10, vcc_lo
	v_lshrrev_b32_e32 v24, v18, v16
	v_cmp_lt_i32_e32 vcc_lo, 5, v14
	v_cmp_eq_u32_e64 s0, 3, v14
	global_store_dword v[7:8], v4, off
	v_lshrrev_b32_e32 v4, 2, v22
	v_lshlrev_b32_e32 v10, v18, v24
	v_mul_f16_sdwa v9, v13, v5 dst_sel:DWORD dst_unused:UNUSED_PAD src0_sel:DWORD src1_sel:WORD_1
	s_or_b32 vcc_lo, s0, vcc_lo
	v_add_co_ci_u32_e32 v13, vcc_lo, 0, v4, vcc_lo
	v_cmp_ne_u32_e32 vcc_lo, v10, v16
	v_fma_f16 v9, v5, v17, -v9
	v_and_or_b32 v0, 0x1ff, v1, v0
	ds_read2_b32 v[4:5], v25 offset0:99 offset1:110
	v_add_nc_u32_e32 v16, 0xfffffc10, v21
	v_cndmask_b32_e64 v14, 0, 1, vcc_lo
	v_cmp_gt_i32_e32 vcc_lo, 31, v15
	v_cvt_f32_f16_e32 v9, v9
	v_lshrrev_b32_e32 v18, 8, v1
	v_lshl_or_b32 v17, v16, 12, v11
	v_or_b32_e32 v14, v24, v14
	v_cndmask_b32_e32 v13, 0x7c00, v13, vcc_lo
	v_cmp_ne_u32_e32 vcc_lo, 0, v0
	v_cvt_f64_f32_e32 v[9:10], v9
	v_bfe_u32 v21, v1, 20, 11
	v_cndmask_b32_e64 v0, 0, 1, vcc_lo
	v_cmp_ne_u32_e32 vcc_lo, 0, v2
	v_and_or_b32 v0, 0xffe, v18, v0
	v_cndmask_b32_e64 v2, 0, 1, vcc_lo
	v_cmp_gt_i32_e32 vcc_lo, 1, v16
	s_waitcnt lgkmcnt(0)
	v_lshrrev_b32_e32 v18, 16, v4
	v_or_b32_e32 v24, 0x1000, v0
	v_lshl_or_b32 v2, v2, 9, 0x7c00
	v_cndmask_b32_e32 v14, v17, v14, vcc_lo
	v_sub_nc_u32_e32 v17, 0x3f1, v21
	v_cmp_eq_u32_e32 vcc_lo, 0x40f, v15
	s_waitcnt vmcnt(2)
	v_mul_f16_sdwa v26, v18, v6 dst_sel:DWORD dst_unused:UNUSED_PAD src0_sel:DWORD src1_sel:WORD_1
	v_add_nc_u32_e32 v21, 0xfffffc10, v21
	v_and_b32_e32 v22, 7, v14
	v_med3_i32 v17, v17, 0, 13
	v_cndmask_b32_e32 v13, v13, v2, vcc_lo
	v_lshrrev_b32_e32 v2, 2, v14
	v_mul_f64 v[9:10], v[9:10], s[22:23]
	v_cmp_lt_i32_e32 vcc_lo, 5, v22
	v_cmp_eq_u32_e64 s0, 3, v22
	v_lshrrev_b32_e32 v15, v17, v24
	v_fmac_f16_e32 v26, v4, v6
	v_lshrrev_b32_e32 v22, 16, v3
	v_mul_f16_sdwa v4, v4, v6 dst_sel:DWORD dst_unused:UNUSED_PAD src0_sel:DWORD src1_sel:WORD_1
	s_or_b32 vcc_lo, s0, vcc_lo
	v_lshlrev_b32_e32 v14, v17, v15
	v_add_co_ci_u32_e32 v17, vcc_lo, 0, v2, vcc_lo
	v_cmp_ne_u32_e32 vcc_lo, 0, v11
	v_cvt_f32_f16_e32 v3, v26
	v_and_or_b32 v13, 0x8000, v22, v13
	v_fma_f16 v4, v6, v18, -v4
	v_cndmask_b32_e64 v11, 0, 1, vcc_lo
	v_cmp_ne_u32_e32 vcc_lo, v14, v24
	v_cvt_f64_f32_e32 v[2:3], v3
	v_and_b32_e32 v13, 0xffff, v13
	v_cvt_f32_f16_e32 v4, v4
	v_lshl_or_b32 v11, v11, 9, 0x7c00
	v_cndmask_b32_e64 v14, 0, 1, vcc_lo
	v_cmp_gt_i32_e32 vcc_lo, 31, v16
	v_and_or_b32 v9, 0x1ff, v10, v9
	v_or_b32_e32 v14, v15, v14
	v_cndmask_b32_e32 v17, 0x7c00, v17, vcc_lo
	v_cmp_eq_u32_e32 vcc_lo, 0x40f, v16
	v_lshl_or_b32 v15, v21, 12, v0
	v_bfe_u32 v16, v10, 20, 11
	v_cndmask_b32_e32 v11, v17, v11, vcc_lo
	v_cmp_gt_i32_e32 vcc_lo, 1, v21
	v_and_or_b32 v11, 0x8000, v12, v11
	v_cndmask_b32_e32 v14, v15, v14, vcc_lo
	v_cmp_ne_u32_e32 vcc_lo, 0, v9
	v_lshrrev_b32_e32 v15, 8, v10
	v_mul_f64 v[2:3], v[2:3], s[22:23]
	v_lshrrev_b32_e32 v10, 16, v10
	v_and_b32_e32 v17, 7, v14
	v_cndmask_b32_e64 v9, 0, 1, vcc_lo
	v_lshrrev_b32_e32 v14, 2, v14
	v_cmp_lt_i32_e32 vcc_lo, 5, v17
	v_and_or_b32 v15, 0xffe, v15, v9
	v_sub_nc_u32_e32 v9, 0x3f1, v16
	v_cmp_eq_u32_e64 s0, 3, v17
	v_or_b32_e32 v12, 0x1000, v15
	v_med3_i32 v9, v9, 0, 13
	s_or_b32 vcc_lo, s0, vcc_lo
	v_add_co_ci_u32_e32 v6, vcc_lo, 0, v14, vcc_lo
	v_lshrrev_b32_e32 v17, v9, v12
	v_cmp_gt_i32_e32 vcc_lo, 31, v21
	v_lshl_or_b32 v14, v11, 16, v13
	v_and_or_b32 v2, 0x1ff, v3, v2
	v_lshrrev_b32_e32 v13, 8, v3
	v_lshlrev_b32_e32 v9, v9, v17
	v_cndmask_b32_e32 v6, 0x7c00, v6, vcc_lo
	v_cmp_ne_u32_e32 vcc_lo, v9, v12
	v_cvt_f64_f32_e32 v[11:12], v4
	v_add_nc_u32_e32 v4, 0xfffffc10, v16
	v_bfe_u32 v16, v3, 20, 11
	v_cndmask_b32_e64 v9, 0, 1, vcc_lo
	v_cmp_ne_u32_e32 vcc_lo, 0, v2
	v_or_b32_e32 v9, v17, v9
	v_cndmask_b32_e64 v2, 0, 1, vcc_lo
	v_cmp_ne_u32_e32 vcc_lo, 0, v0
	v_lshl_or_b32 v17, v4, 12, v15
	v_and_or_b32 v2, 0xffe, v13, v2
	v_cndmask_b32_e64 v0, 0, 1, vcc_lo
	v_cmp_gt_i32_e32 vcc_lo, 1, v4
	v_sub_nc_u32_e32 v13, 0x3f1, v16
	v_add_nc_u32_e32 v16, 0xfffffc10, v16
	v_lshl_or_b32 v0, v0, 9, 0x7c00
	v_cndmask_b32_e32 v9, v17, v9, vcc_lo
	v_cmp_eq_u32_e32 vcc_lo, 0x40f, v21
	v_or_b32_e32 v17, 0x1000, v2
	v_med3_i32 v13, v13, 0, 13
	v_lshrrev_b32_e32 v21, 16, v1
	v_and_b32_e32 v22, 7, v9
	v_cndmask_b32_e32 v18, v6, v0, vcc_lo
	v_mul_f64 v[0:1], v[11:12], s[22:23]
	v_lshrrev_b32_e32 v24, v13, v17
	v_lshrrev_b32_e32 v11, 16, v5
	v_add_co_u32 v6, vcc_lo, v7, s19
	v_add_co_ci_u32_e32 v7, vcc_lo, s24, v8, vcc_lo
	v_lshlrev_b32_e32 v13, v13, v24
	s_waitcnt vmcnt(1)
	v_mul_f16_sdwa v8, v11, v19 dst_sel:DWORD dst_unused:UNUSED_PAD src0_sel:DWORD src1_sel:WORD_1
	v_cmp_lt_i32_e32 vcc_lo, 5, v22
	v_cmp_eq_u32_e64 s0, 3, v22
	v_lshrrev_b32_e32 v9, 2, v9
	v_cmp_ne_u32_e64 s1, v13, v17
	v_fmac_f16_e32 v8, v5, v19
	v_and_or_b32 v12, 0x8000, v21, v18
	s_or_b32 vcc_lo, s0, vcc_lo
	v_lshl_or_b32 v18, v16, 12, v2
	v_add_co_ci_u32_e32 v17, vcc_lo, 0, v9, vcc_lo
	v_cndmask_b32_e64 v13, 0, 1, s1
	v_cmp_ne_u32_e32 vcc_lo, 0, v15
	v_cvt_f32_f16_e32 v8, v8
	v_and_or_b32 v0, 0x1ff, v1, v0
	v_bfe_u32 v21, v1, 20, 11
	v_or_b32_e32 v13, v24, v13
	v_cndmask_b32_e64 v15, 0, 1, vcc_lo
	v_cmp_gt_i32_e32 vcc_lo, 1, v16
	v_cvt_f64_f32_e32 v[8:9], v8
	v_and_b32_e32 v12, 0xffff, v12
	v_lshl_or_b32 v15, v15, 9, 0x7c00
	v_cndmask_b32_e32 v13, v18, v13, vcc_lo
	v_cmp_ne_u32_e32 vcc_lo, 0, v0
	v_lshrrev_b32_e32 v18, 8, v1
	v_and_b32_e32 v22, 7, v13
	v_cndmask_b32_e64 v0, 0, 1, vcc_lo
	v_cmp_gt_i32_e32 vcc_lo, 31, v4
	v_cmp_eq_u32_e64 s0, 3, v22
	v_and_or_b32 v0, 0xffe, v18, v0
	v_cndmask_b32_e32 v17, 0x7c00, v17, vcc_lo
	v_cmp_eq_u32_e32 vcc_lo, 0x40f, v4
	v_cndmask_b32_e32 v4, v17, v15, vcc_lo
	v_sub_nc_u32_e32 v15, 0x3f1, v21
	v_cmp_lt_i32_e32 vcc_lo, 5, v22
	v_mul_f64 v[8:9], v[8:9], s[22:23]
	v_or_b32_e32 v17, 0x1000, v0
	v_and_or_b32 v4, 0x8000, v10, v4
	v_lshrrev_b32_e32 v10, 2, v13
	v_med3_i32 v15, v15, 0, 13
	s_or_b32 vcc_lo, s0, vcc_lo
	v_lshl_or_b32 v18, v4, 16, v12
	v_add_co_ci_u32_e32 v10, vcc_lo, 0, v10, vcc_lo
	v_lshrrev_b32_e32 v13, v15, v17
	v_cmp_ne_u32_e32 vcc_lo, 0, v2
	v_lshlrev_b32_e32 v12, v15, v13
	v_cndmask_b32_e64 v2, 0, 1, vcc_lo
	v_cmp_gt_i32_e32 vcc_lo, 31, v16
	v_mul_f16_sdwa v15, v5, v19 dst_sel:DWORD dst_unused:UNUSED_PAD src0_sel:DWORD src1_sel:WORD_1
	ds_read2_b32 v[4:5], v25 offset0:121 offset1:132
	v_lshl_or_b32 v2, v2, 9, 0x7c00
	v_cndmask_b32_e32 v10, 0x7c00, v10, vcc_lo
	v_cmp_ne_u32_e32 vcc_lo, v12, v17
	v_and_or_b32 v8, 0x1ff, v9, v8
	v_fma_f16 v11, v19, v11, -v15
	v_add_nc_u32_e32 v17, 0xfffffc10, v21
	v_cndmask_b32_e64 v12, 0, 1, vcc_lo
	v_cmp_eq_u32_e32 vcc_lo, 0x40f, v16
	v_bfe_u32 v16, v9, 20, 11
	v_cndmask_b32_e32 v15, v10, v2, vcc_lo
	v_cmp_ne_u32_e32 vcc_lo, 0, v8
	v_cvt_f32_f16_e32 v10, v11
	v_or_b32_e32 v2, v13, v12
	v_lshl_or_b32 v12, v17, 12, v0
	v_lshrrev_b32_e32 v13, 8, v9
	v_cndmask_b32_e64 v8, 0, 1, vcc_lo
	v_cmp_gt_i32_e32 vcc_lo, 1, v17
	v_cvt_f64_f32_e32 v[10:11], v10
	s_waitcnt lgkmcnt(0)
	v_lshrrev_b32_e32 v19, 16, v4
	v_lshrrev_b32_e32 v9, 16, v9
	v_and_or_b32 v8, 0xffe, v13, v8
	v_cndmask_b32_e32 v12, v12, v2, vcc_lo
	v_sub_nc_u32_e32 v2, 0x3f1, v16
	s_waitcnt vmcnt(0)
	v_mul_f16_sdwa v25, v19, v20 dst_sel:DWORD dst_unused:UNUSED_PAD src0_sel:DWORD src1_sel:WORD_1
	v_lshrrev_b32_e32 v13, 16, v3
	v_or_b32_e32 v22, 0x1000, v8
	v_and_b32_e32 v21, 7, v12
	v_med3_i32 v24, v2, 0, 13
	v_add_co_u32 v2, vcc_lo, v6, s19
	v_add_co_ci_u32_e32 v3, vcc_lo, s24, v7, vcc_lo
	v_lshrrev_b32_e32 v26, v24, v22
	v_fmac_f16_e32 v25, v4, v20
	v_cmp_lt_i32_e32 vcc_lo, 5, v21
	v_cmp_eq_u32_e64 s0, 3, v21
	v_lshrrev_b32_e32 v12, 2, v12
	v_lshlrev_b32_e32 v21, v24, v26
	v_and_or_b32 v15, 0x8000, v13, v15
	v_cvt_f32_f16_e32 v13, v25
	s_or_b32 vcc_lo, s0, vcc_lo
	v_mul_f64 v[10:11], v[10:11], s[22:23]
	v_add_co_ci_u32_e32 v24, vcc_lo, 0, v12, vcc_lo
	v_cmp_ne_u32_e32 vcc_lo, v21, v22
	v_cvt_f64_f32_e32 v[12:13], v13
	v_add_nc_u32_e32 v16, 0xfffffc10, v16
	v_mul_f16_sdwa v4, v4, v20 dst_sel:DWORD dst_unused:UNUSED_PAD src0_sel:DWORD src1_sel:WORD_1
	v_and_b32_e32 v15, 0xffff, v15
	v_cndmask_b32_e64 v21, 0, 1, vcc_lo
	v_cmp_ne_u32_e32 vcc_lo, 0, v0
	v_lshl_or_b32 v22, v16, 12, v8
	v_fma_f16 v4, v20, v19, -v4
	v_or_b32_e32 v21, v26, v21
	v_cndmask_b32_e64 v0, 0, 1, vcc_lo
	v_cmp_gt_i32_e32 vcc_lo, 31, v17
	v_cvt_f32_f16_e32 v4, v4
	v_lshl_or_b32 v0, v0, 9, 0x7c00
	v_cndmask_b32_e32 v19, 0x7c00, v24, vcc_lo
	v_cmp_gt_i32_e32 vcc_lo, 1, v16
	v_and_or_b32 v10, 0x1ff, v11, v10
	v_cndmask_b32_e32 v20, v22, v21, vcc_lo
	v_cmp_eq_u32_e32 vcc_lo, 0x40f, v17
	v_mul_f64 v[12:13], v[12:13], s[22:23]
	v_lshrrev_b32_e32 v21, 8, v11
	v_bfe_u32 v22, v11, 20, 11
	v_lshrrev_b32_e32 v11, 16, v11
	v_cndmask_b32_e32 v17, v19, v0, vcc_lo
	v_lshrrev_b32_e32 v19, 16, v1
	v_cvt_f64_f32_e32 v[0:1], v4
	v_cmp_ne_u32_e32 vcc_lo, 0, v10
	v_and_b32_e32 v4, 7, v20
	v_and_or_b32 v17, 0x8000, v19, v17
	v_sub_nc_u32_e32 v19, 0x3f1, v22
	v_cndmask_b32_e64 v10, 0, 1, vcc_lo
	v_cmp_lt_i32_e32 vcc_lo, 5, v4
	v_cmp_eq_u32_e64 s0, 3, v4
	v_lshl_or_b32 v4, v17, 16, v15
	v_lshrrev_b32_e32 v15, 2, v20
	v_and_or_b32 v10, 0xffe, v21, v10
	v_med3_i32 v19, v19, 0, 13
	s_or_b32 vcc_lo, s0, vcc_lo
	v_add_co_ci_u32_e32 v15, vcc_lo, 0, v15, vcc_lo
	v_or_b32_e32 v17, 0x1000, v10
	v_cmp_ne_u32_e32 vcc_lo, 0, v8
	v_and_or_b32 v12, 0x1ff, v13, v12
	v_lshrrev_b32_e32 v21, 8, v13
	v_bfe_u32 v24, v13, 20, 11
	v_lshrrev_b32_e32 v20, v19, v17
	v_cndmask_b32_e64 v8, 0, 1, vcc_lo
	v_cmp_gt_i32_e32 vcc_lo, 31, v16
	v_mul_f64 v[0:1], v[0:1], s[22:23]
	v_lshrrev_b32_e32 v13, 16, v13
	v_lshlrev_b32_e32 v19, v19, v20
	v_lshl_or_b32 v8, v8, 9, 0x7c00
	v_cndmask_b32_e32 v15, 0x7c00, v15, vcc_lo
	v_cmp_ne_u32_e32 vcc_lo, 0, v12
	v_cndmask_b32_e64 v12, 0, 1, vcc_lo
	v_cmp_ne_u32_e32 vcc_lo, v19, v17
	v_add_nc_u32_e32 v19, 0xfffffc10, v22
	v_and_or_b32 v12, 0xffe, v21, v12
	v_cndmask_b32_e64 v17, 0, 1, vcc_lo
	v_sub_nc_u32_e32 v21, 0x3f1, v24
	v_cmp_eq_u32_e32 vcc_lo, 0x40f, v16
	v_lshl_or_b32 v16, v19, 12, v10
	v_and_or_b32 v0, 0x1ff, v1, v0
	v_cndmask_b32_e32 v8, v15, v8, vcc_lo
	v_or_b32_e32 v15, v20, v17
	v_or_b32_e32 v17, 0x1000, v12
	v_med3_i32 v20, v21, 0, 13
	v_cmp_gt_i32_e32 vcc_lo, 1, v19
	v_lshrrev_b32_e32 v21, 8, v1
	v_bfe_u32 v22, v1, 20, 11
	v_and_or_b32 v8, 0x8000, v9, v8
	v_cndmask_b32_e32 v15, v16, v15, vcc_lo
	v_lshrrev_b32_e32 v16, v20, v17
	v_cmp_ne_u32_e32 vcc_lo, 0, v0
	v_sub_nc_u32_e32 v9, 0x3f1, v22
	v_and_b32_e32 v8, 0xffff, v8
	v_and_b32_e32 v25, 7, v15
	v_lshlrev_b32_e32 v20, v20, v16
	v_cndmask_b32_e64 v0, 0, 1, vcc_lo
	v_lshrrev_b32_e32 v15, 2, v15
	v_med3_i32 v9, v9, 0, 13
	v_cmp_lt_i32_e32 vcc_lo, 5, v25
	v_cmp_ne_u32_e64 s0, v20, v17
	v_and_or_b32 v0, 0xffe, v21, v0
	v_add_nc_u32_e32 v21, 0xfffffc10, v24
	v_cndmask_b32_e64 v17, 0, 1, s0
	v_cmp_eq_u32_e64 s0, 3, v25
	v_or_b32_e32 v20, 0x1000, v0
	v_lshl_or_b32 v24, v21, 12, v12
	v_or_b32_e32 v16, v16, v17
	s_or_b32 vcc_lo, s0, vcc_lo
	v_lshrrev_b32_e32 v17, v9, v20
	v_add_co_ci_u32_e32 v15, vcc_lo, 0, v15, vcc_lo
	v_cmp_gt_i32_e32 vcc_lo, 1, v21
	v_lshlrev_b32_e32 v9, v9, v17
	v_cndmask_b32_e32 v16, v24, v16, vcc_lo
	v_cmp_ne_u32_e32 vcc_lo, 0, v10
	v_cndmask_b32_e64 v10, 0, 1, vcc_lo
	v_cmp_ne_u32_e32 vcc_lo, v9, v20
	v_add_nc_u32_e32 v20, 0xfffffc10, v22
	v_and_b32_e32 v22, 7, v16
	v_lshl_or_b32 v10, v10, 9, 0x7c00
	v_cndmask_b32_e64 v9, 0, 1, vcc_lo
	v_cmp_gt_i32_e32 vcc_lo, 31, v19
	v_cmp_gt_i32_e64 s1, 1, v20
	v_cmp_eq_u32_e64 s0, 3, v22
	v_or_b32_e32 v9, v17, v9
	v_lshl_or_b32 v17, v20, 12, v0
	v_cndmask_b32_e32 v15, 0x7c00, v15, vcc_lo
	v_cmp_lt_i32_e32 vcc_lo, 5, v22
	v_cndmask_b32_e64 v9, v17, v9, s1
	v_cmp_eq_u32_e64 s1, 0x40f, v19
	s_or_b32 vcc_lo, s0, vcc_lo
	v_cndmask_b32_e64 v10, v15, v10, s1
	v_lshrrev_b32_e32 v15, 2, v16
	v_and_b32_e32 v16, 7, v9
	v_lshrrev_b32_e32 v9, 2, v9
	v_cmp_gt_i32_e64 s1, 31, v21
	v_and_or_b32 v10, 0x8000, v11, v10
	v_add_co_ci_u32_e32 v15, vcc_lo, 0, v15, vcc_lo
	v_cmp_ne_u32_e32 vcc_lo, 0, v12
	v_cmp_eq_u32_e64 s0, 3, v16
	v_cndmask_b32_e64 v15, 0x7c00, v15, s1
	v_cndmask_b32_e64 v12, 0, 1, vcc_lo
	v_cmp_lt_i32_e32 vcc_lo, 5, v16
	v_lshl_or_b32 v12, v12, 9, 0x7c00
	s_or_b32 vcc_lo, s0, vcc_lo
	v_add_co_ci_u32_e32 v9, vcc_lo, 0, v9, vcc_lo
	v_cmp_ne_u32_e32 vcc_lo, 0, v0
	v_cndmask_b32_e64 v0, 0, 1, vcc_lo
	v_cmp_eq_u32_e32 vcc_lo, 0x40f, v21
	v_lshl_or_b32 v0, v0, 9, 0x7c00
	v_cndmask_b32_e32 v12, v15, v12, vcc_lo
	v_cmp_gt_i32_e32 vcc_lo, 31, v20
	v_and_or_b32 v11, 0x8000, v13, v12
	v_cndmask_b32_e32 v9, 0x7c00, v9, vcc_lo
	v_cmp_eq_u32_e32 vcc_lo, 0x40f, v20
	v_lshrrev_b32_e32 v12, 16, v1
	v_lshl_or_b32 v13, v10, 16, v8
	v_and_b32_e32 v11, 0xffff, v11
	v_cndmask_b32_e32 v9, v9, v0, vcc_lo
	v_add_co_u32 v0, vcc_lo, v2, s19
	v_add_co_ci_u32_e32 v1, vcc_lo, s24, v3, vcc_lo
	v_and_or_b32 v10, 0x8000, v12, v9
	v_add_co_u32 v8, vcc_lo, v0, s19
	v_add_co_ci_u32_e32 v9, vcc_lo, s24, v1, vcc_lo
	v_lshl_or_b32 v12, v10, 16, v11
	v_add_co_u32 v10, vcc_lo, v8, s19
	v_add_co_ci_u32_e32 v11, vcc_lo, s24, v9, vcc_lo
	global_store_dword v[6:7], v14, off
	global_store_dword v[2:3], v18, off
	;; [unrolled: 1-line block ×5, first 2 shown]
	global_load_dword v0, v23, s[20:21] offset:528
	v_lshrrev_b32_e32 v1, 16, v5
	s_waitcnt vmcnt(0)
	v_mul_f16_sdwa v2, v1, v0 dst_sel:DWORD dst_unused:UNUSED_PAD src0_sel:DWORD src1_sel:WORD_1
	v_mul_f16_sdwa v3, v5, v0 dst_sel:DWORD dst_unused:UNUSED_PAD src0_sel:DWORD src1_sel:WORD_1
	v_fmac_f16_e32 v2, v5, v0
	v_fma_f16 v0, v0, v1, -v3
	v_cvt_f32_f16_e32 v1, v2
	v_cvt_f32_f16_e32 v2, v0
	v_cvt_f64_f32_e32 v[0:1], v1
	v_cvt_f64_f32_e32 v[2:3], v2
	v_mul_f64 v[0:1], v[0:1], s[22:23]
	v_mul_f64 v[2:3], v[2:3], s[22:23]
	v_and_or_b32 v0, 0x1ff, v1, v0
	v_and_or_b32 v2, 0x1ff, v3, v2
	v_lshrrev_b32_e32 v4, 8, v1
	v_bfe_u32 v5, v1, 20, 11
	v_lshrrev_b32_e32 v6, 8, v3
	v_cmp_ne_u32_e32 vcc_lo, 0, v0
	v_bfe_u32 v7, v3, 20, 11
	v_lshrrev_b32_e32 v1, 16, v1
	v_lshrrev_b32_e32 v3, 16, v3
	v_cndmask_b32_e64 v0, 0, 1, vcc_lo
	v_cmp_ne_u32_e32 vcc_lo, 0, v2
	v_and_or_b32 v0, 0xffe, v4, v0
	v_cndmask_b32_e64 v2, 0, 1, vcc_lo
	v_sub_nc_u32_e32 v4, 0x3f1, v5
	v_add_nc_u32_e32 v5, 0xfffffc10, v5
	v_or_b32_e32 v8, 0x1000, v0
	v_and_or_b32 v2, 0xffe, v6, v2
	v_sub_nc_u32_e32 v6, 0x3f1, v7
	v_med3_i32 v4, v4, 0, 13
	v_add_nc_u32_e32 v7, 0xfffffc10, v7
	v_or_b32_e32 v9, 0x1000, v2
	v_med3_i32 v6, v6, 0, 13
	v_lshrrev_b32_e32 v12, v4, v8
	v_lshrrev_b32_e32 v13, v6, v9
	v_lshlrev_b32_e32 v4, v4, v12
	v_lshlrev_b32_e32 v6, v6, v13
	v_cmp_ne_u32_e32 vcc_lo, v4, v8
	v_lshl_or_b32 v8, v5, 12, v0
	v_cndmask_b32_e64 v4, 0, 1, vcc_lo
	v_cmp_ne_u32_e32 vcc_lo, v6, v9
	v_lshl_or_b32 v9, v7, 12, v2
	v_or_b32_e32 v4, v12, v4
	v_cndmask_b32_e64 v6, 0, 1, vcc_lo
	v_cmp_gt_i32_e32 vcc_lo, 1, v5
	v_or_b32_e32 v6, v13, v6
	v_cndmask_b32_e32 v4, v8, v4, vcc_lo
	v_cmp_gt_i32_e32 vcc_lo, 1, v7
	v_and_b32_e32 v8, 7, v4
	v_cndmask_b32_e32 v6, v9, v6, vcc_lo
	v_lshrrev_b32_e32 v4, 2, v4
	v_cmp_lt_i32_e32 vcc_lo, 5, v8
	v_cmp_eq_u32_e64 s0, 3, v8
	v_and_b32_e32 v9, 7, v6
	v_lshrrev_b32_e32 v6, 2, v6
	s_or_b32 vcc_lo, s0, vcc_lo
	v_cmp_lt_i32_e64 s1, 5, v9
	v_add_co_ci_u32_e32 v4, vcc_lo, 0, v4, vcc_lo
	v_cmp_eq_u32_e64 s2, 3, v9
	v_cmp_ne_u32_e32 vcc_lo, 0, v0
	v_cndmask_b32_e64 v0, 0, 1, vcc_lo
	s_or_b32 vcc_lo, s2, s1
	v_add_co_ci_u32_e32 v6, vcc_lo, 0, v6, vcc_lo
	v_cmp_ne_u32_e32 vcc_lo, 0, v2
	v_lshl_or_b32 v0, v0, 9, 0x7c00
	v_cndmask_b32_e64 v2, 0, 1, vcc_lo
	v_cmp_gt_i32_e32 vcc_lo, 31, v5
	v_lshl_or_b32 v2, v2, 9, 0x7c00
	v_cndmask_b32_e32 v4, 0x7c00, v4, vcc_lo
	v_cmp_gt_i32_e32 vcc_lo, 31, v7
	v_cndmask_b32_e32 v6, 0x7c00, v6, vcc_lo
	v_cmp_eq_u32_e32 vcc_lo, 0x40f, v5
	v_cndmask_b32_e32 v0, v4, v0, vcc_lo
	v_cmp_eq_u32_e32 vcc_lo, 0x40f, v7
	v_and_or_b32 v0, 0x8000, v1, v0
	v_cndmask_b32_e32 v2, v6, v2, vcc_lo
	v_and_b32_e32 v0, 0xffff, v0
	v_and_or_b32 v1, 0x8000, v3, v2
	v_lshl_or_b32 v2, v1, 16, v0
	v_add_co_u32 v0, vcc_lo, v10, s19
	v_add_co_ci_u32_e32 v1, vcc_lo, s24, v11, vcc_lo
	global_store_dword v[0:1], v2, off
.LBB0_15:
	s_endpgm
	.section	.rodata,"a",@progbits
	.p2align	6, 0x0
	.amdhsa_kernel bluestein_single_back_len143_dim1_half_op_CI_CI
		.amdhsa_group_segment_fixed_size 8008
		.amdhsa_private_segment_fixed_size 0
		.amdhsa_kernarg_size 104
		.amdhsa_user_sgpr_count 6
		.amdhsa_user_sgpr_private_segment_buffer 1
		.amdhsa_user_sgpr_dispatch_ptr 0
		.amdhsa_user_sgpr_queue_ptr 0
		.amdhsa_user_sgpr_kernarg_segment_ptr 1
		.amdhsa_user_sgpr_dispatch_id 0
		.amdhsa_user_sgpr_flat_scratch_init 0
		.amdhsa_user_sgpr_private_segment_size 0
		.amdhsa_wavefront_size32 1
		.amdhsa_uses_dynamic_stack 0
		.amdhsa_system_sgpr_private_segment_wavefront_offset 0
		.amdhsa_system_sgpr_workgroup_id_x 1
		.amdhsa_system_sgpr_workgroup_id_y 0
		.amdhsa_system_sgpr_workgroup_id_z 0
		.amdhsa_system_sgpr_workgroup_info 0
		.amdhsa_system_vgpr_workitem_id 0
		.amdhsa_next_free_vgpr 140
		.amdhsa_next_free_sgpr 25
		.amdhsa_reserve_vcc 1
		.amdhsa_reserve_flat_scratch 0
		.amdhsa_float_round_mode_32 0
		.amdhsa_float_round_mode_16_64 0
		.amdhsa_float_denorm_mode_32 3
		.amdhsa_float_denorm_mode_16_64 3
		.amdhsa_dx10_clamp 1
		.amdhsa_ieee_mode 1
		.amdhsa_fp16_overflow 0
		.amdhsa_workgroup_processor_mode 1
		.amdhsa_memory_ordered 1
		.amdhsa_forward_progress 0
		.amdhsa_shared_vgpr_count 0
		.amdhsa_exception_fp_ieee_invalid_op 0
		.amdhsa_exception_fp_denorm_src 0
		.amdhsa_exception_fp_ieee_div_zero 0
		.amdhsa_exception_fp_ieee_overflow 0
		.amdhsa_exception_fp_ieee_underflow 0
		.amdhsa_exception_fp_ieee_inexact 0
		.amdhsa_exception_int_div_zero 0
	.end_amdhsa_kernel
	.text
.Lfunc_end0:
	.size	bluestein_single_back_len143_dim1_half_op_CI_CI, .Lfunc_end0-bluestein_single_back_len143_dim1_half_op_CI_CI
                                        ; -- End function
	.section	.AMDGPU.csdata,"",@progbits
; Kernel info:
; codeLenInByte = 20924
; NumSgprs: 27
; NumVgprs: 140
; ScratchSize: 0
; MemoryBound: 0
; FloatMode: 240
; IeeeMode: 1
; LDSByteSize: 8008 bytes/workgroup (compile time only)
; SGPRBlocks: 3
; VGPRBlocks: 17
; NumSGPRsForWavesPerEU: 27
; NumVGPRsForWavesPerEU: 140
; Occupancy: 7
; WaveLimiterHint : 1
; COMPUTE_PGM_RSRC2:SCRATCH_EN: 0
; COMPUTE_PGM_RSRC2:USER_SGPR: 6
; COMPUTE_PGM_RSRC2:TRAP_HANDLER: 0
; COMPUTE_PGM_RSRC2:TGID_X_EN: 1
; COMPUTE_PGM_RSRC2:TGID_Y_EN: 0
; COMPUTE_PGM_RSRC2:TGID_Z_EN: 0
; COMPUTE_PGM_RSRC2:TIDIG_COMP_CNT: 0
	.text
	.p2alignl 6, 3214868480
	.fill 48, 4, 3214868480
	.type	__hip_cuid_b1efe50b0d11b10e,@object ; @__hip_cuid_b1efe50b0d11b10e
	.section	.bss,"aw",@nobits
	.globl	__hip_cuid_b1efe50b0d11b10e
__hip_cuid_b1efe50b0d11b10e:
	.byte	0                               ; 0x0
	.size	__hip_cuid_b1efe50b0d11b10e, 1

	.ident	"AMD clang version 19.0.0git (https://github.com/RadeonOpenCompute/llvm-project roc-6.4.0 25133 c7fe45cf4b819c5991fe208aaa96edf142730f1d)"
	.section	".note.GNU-stack","",@progbits
	.addrsig
	.addrsig_sym __hip_cuid_b1efe50b0d11b10e
	.amdgpu_metadata
---
amdhsa.kernels:
  - .args:
      - .actual_access:  read_only
        .address_space:  global
        .offset:         0
        .size:           8
        .value_kind:     global_buffer
      - .actual_access:  read_only
        .address_space:  global
        .offset:         8
        .size:           8
        .value_kind:     global_buffer
      - .actual_access:  read_only
        .address_space:  global
        .offset:         16
        .size:           8
        .value_kind:     global_buffer
      - .actual_access:  read_only
        .address_space:  global
        .offset:         24
        .size:           8
        .value_kind:     global_buffer
      - .actual_access:  read_only
        .address_space:  global
        .offset:         32
        .size:           8
        .value_kind:     global_buffer
      - .offset:         40
        .size:           8
        .value_kind:     by_value
      - .address_space:  global
        .offset:         48
        .size:           8
        .value_kind:     global_buffer
      - .address_space:  global
        .offset:         56
        .size:           8
        .value_kind:     global_buffer
      - .address_space:  global
        .offset:         64
        .size:           8
        .value_kind:     global_buffer
      - .address_space:  global
        .offset:         72
        .size:           8
        .value_kind:     global_buffer
      - .offset:         80
        .size:           4
        .value_kind:     by_value
      - .address_space:  global
        .offset:         88
        .size:           8
        .value_kind:     global_buffer
      - .address_space:  global
        .offset:         96
        .size:           8
        .value_kind:     global_buffer
    .group_segment_fixed_size: 8008
    .kernarg_segment_align: 8
    .kernarg_segment_size: 104
    .language:       OpenCL C
    .language_version:
      - 2
      - 0
    .max_flat_workgroup_size: 182
    .name:           bluestein_single_back_len143_dim1_half_op_CI_CI
    .private_segment_fixed_size: 0
    .sgpr_count:     27
    .sgpr_spill_count: 0
    .symbol:         bluestein_single_back_len143_dim1_half_op_CI_CI.kd
    .uniform_work_group_size: 1
    .uses_dynamic_stack: false
    .vgpr_count:     140
    .vgpr_spill_count: 0
    .wavefront_size: 32
    .workgroup_processor_mode: 1
amdhsa.target:   amdgcn-amd-amdhsa--gfx1030
amdhsa.version:
  - 1
  - 2
...

	.end_amdgpu_metadata
